;; amdgpu-corpus repo=ROCm/rocFFT kind=compiled arch=gfx1201 opt=O3
	.text
	.amdgcn_target "amdgcn-amd-amdhsa--gfx1201"
	.amdhsa_code_object_version 6
	.protected	fft_rtc_back_len3840_factors_10_6_2_2_2_2_2_2_wgs_128_tpt_128_halfLds_dp_ip_CI_unitstride_sbrr_C2R_dirReg ; -- Begin function fft_rtc_back_len3840_factors_10_6_2_2_2_2_2_2_wgs_128_tpt_128_halfLds_dp_ip_CI_unitstride_sbrr_C2R_dirReg
	.globl	fft_rtc_back_len3840_factors_10_6_2_2_2_2_2_2_wgs_128_tpt_128_halfLds_dp_ip_CI_unitstride_sbrr_C2R_dirReg
	.p2align	8
	.type	fft_rtc_back_len3840_factors_10_6_2_2_2_2_2_2_wgs_128_tpt_128_halfLds_dp_ip_CI_unitstride_sbrr_C2R_dirReg,@function
fft_rtc_back_len3840_factors_10_6_2_2_2_2_2_2_wgs_128_tpt_128_halfLds_dp_ip_CI_unitstride_sbrr_C2R_dirReg: ; @fft_rtc_back_len3840_factors_10_6_2_2_2_2_2_2_wgs_128_tpt_128_halfLds_dp_ip_CI_unitstride_sbrr_C2R_dirReg
; %bb.0:
	s_clause 0x2
	s_load_b128 s[4:7], s[0:1], 0x0
	s_load_b64 s[8:9], s[0:1], 0x50
	s_load_b64 s[10:11], s[0:1], 0x18
	v_mov_b32_e32 v3, 0
	v_mov_b32_e32 v1, 0
	v_mov_b32_e32 v133, v0
	v_dual_mov_b32 v5, ttmp9 :: v_dual_mov_b32 v2, 0
	s_delay_alu instid0(VALU_DEP_4) | instskip(SKIP_3) | instid1(VALU_DEP_1)
	v_mov_b32_e32 v6, v3
	s_mov_b32 s3, 0
	s_wait_kmcnt 0x0
	v_cmp_lt_u64_e64 s2, s[6:7], 2
	s_and_b32 vcc_lo, exec_lo, s2
	s_cbranch_vccnz .LBB0_8
; %bb.1:
	s_load_b64 s[14:15], s[0:1], 0x10
	v_mov_b32_e32 v1, 0
	v_mov_b32_e32 v2, 0
	s_add_nc_u64 s[12:13], s[10:11], 8
	s_mov_b64 s[16:17], 1
	s_wait_kmcnt 0x0
	s_add_nc_u64 s[14:15], s[14:15], 8
.LBB0_2:                                ; =>This Inner Loop Header: Depth=1
	s_load_b64 s[18:19], s[14:15], 0x0
                                        ; implicit-def: $vgpr7_vgpr8
	s_mov_b32 s2, exec_lo
	s_wait_kmcnt 0x0
	v_or_b32_e32 v4, s19, v6
	s_delay_alu instid0(VALU_DEP_1)
	v_cmpx_ne_u64_e32 0, v[3:4]
	s_wait_alu 0xfffe
	s_xor_b32 s20, exec_lo, s2
	s_cbranch_execz .LBB0_4
; %bb.3:                                ;   in Loop: Header=BB0_2 Depth=1
	s_cvt_f32_u32 s2, s18
	s_cvt_f32_u32 s21, s19
	s_sub_nc_u64 s[24:25], 0, s[18:19]
	s_wait_alu 0xfffe
	s_delay_alu instid0(SALU_CYCLE_1) | instskip(SKIP_1) | instid1(SALU_CYCLE_2)
	s_fmamk_f32 s2, s21, 0x4f800000, s2
	s_wait_alu 0xfffe
	v_s_rcp_f32 s2, s2
	s_delay_alu instid0(TRANS32_DEP_1) | instskip(SKIP_1) | instid1(SALU_CYCLE_2)
	s_mul_f32 s2, s2, 0x5f7ffffc
	s_wait_alu 0xfffe
	s_mul_f32 s21, s2, 0x2f800000
	s_wait_alu 0xfffe
	s_delay_alu instid0(SALU_CYCLE_2) | instskip(SKIP_1) | instid1(SALU_CYCLE_2)
	s_trunc_f32 s21, s21
	s_wait_alu 0xfffe
	s_fmamk_f32 s2, s21, 0xcf800000, s2
	s_cvt_u32_f32 s23, s21
	s_wait_alu 0xfffe
	s_delay_alu instid0(SALU_CYCLE_1) | instskip(SKIP_1) | instid1(SALU_CYCLE_2)
	s_cvt_u32_f32 s22, s2
	s_wait_alu 0xfffe
	s_mul_u64 s[26:27], s[24:25], s[22:23]
	s_wait_alu 0xfffe
	s_mul_hi_u32 s29, s22, s27
	s_mul_i32 s28, s22, s27
	s_mul_hi_u32 s2, s22, s26
	s_mul_i32 s30, s23, s26
	s_wait_alu 0xfffe
	s_add_nc_u64 s[28:29], s[2:3], s[28:29]
	s_mul_hi_u32 s21, s23, s26
	s_mul_hi_u32 s31, s23, s27
	s_add_co_u32 s2, s28, s30
	s_wait_alu 0xfffe
	s_add_co_ci_u32 s2, s29, s21
	s_mul_i32 s26, s23, s27
	s_add_co_ci_u32 s27, s31, 0
	s_wait_alu 0xfffe
	s_add_nc_u64 s[26:27], s[2:3], s[26:27]
	s_wait_alu 0xfffe
	v_add_co_u32 v0, s2, s22, s26
	s_delay_alu instid0(VALU_DEP_1) | instskip(SKIP_1) | instid1(VALU_DEP_1)
	s_cmp_lg_u32 s2, 0
	s_add_co_ci_u32 s23, s23, s27
	v_readfirstlane_b32 s22, v0
	s_wait_alu 0xfffe
	s_delay_alu instid0(VALU_DEP_1)
	s_mul_u64 s[24:25], s[24:25], s[22:23]
	s_wait_alu 0xfffe
	s_mul_hi_u32 s27, s22, s25
	s_mul_i32 s26, s22, s25
	s_mul_hi_u32 s2, s22, s24
	s_mul_i32 s28, s23, s24
	s_wait_alu 0xfffe
	s_add_nc_u64 s[26:27], s[2:3], s[26:27]
	s_mul_hi_u32 s21, s23, s24
	s_mul_hi_u32 s22, s23, s25
	s_wait_alu 0xfffe
	s_add_co_u32 s2, s26, s28
	s_add_co_ci_u32 s2, s27, s21
	s_mul_i32 s24, s23, s25
	s_add_co_ci_u32 s25, s22, 0
	s_wait_alu 0xfffe
	s_add_nc_u64 s[24:25], s[2:3], s[24:25]
	s_wait_alu 0xfffe
	v_add_co_u32 v0, s2, v0, s24
	s_delay_alu instid0(VALU_DEP_1) | instskip(SKIP_1) | instid1(VALU_DEP_1)
	s_cmp_lg_u32 s2, 0
	s_add_co_ci_u32 s2, s23, s25
	v_mul_hi_u32 v4, v5, v0
	s_wait_alu 0xfffe
	v_mad_co_u64_u32 v[7:8], null, v5, s2, 0
	v_mad_co_u64_u32 v[9:10], null, v6, v0, 0
	v_mad_co_u64_u32 v[11:12], null, v6, s2, 0
	s_delay_alu instid0(VALU_DEP_3) | instskip(SKIP_1) | instid1(VALU_DEP_4)
	v_add_co_u32 v0, vcc_lo, v4, v7
	s_wait_alu 0xfffd
	v_add_co_ci_u32_e32 v4, vcc_lo, 0, v8, vcc_lo
	s_delay_alu instid0(VALU_DEP_2) | instskip(SKIP_1) | instid1(VALU_DEP_2)
	v_add_co_u32 v0, vcc_lo, v0, v9
	s_wait_alu 0xfffd
	v_add_co_ci_u32_e32 v0, vcc_lo, v4, v10, vcc_lo
	s_wait_alu 0xfffd
	v_add_co_ci_u32_e32 v4, vcc_lo, 0, v12, vcc_lo
	s_delay_alu instid0(VALU_DEP_2) | instskip(SKIP_1) | instid1(VALU_DEP_2)
	v_add_co_u32 v0, vcc_lo, v0, v11
	s_wait_alu 0xfffd
	v_add_co_ci_u32_e32 v4, vcc_lo, 0, v4, vcc_lo
	s_delay_alu instid0(VALU_DEP_2) | instskip(SKIP_1) | instid1(VALU_DEP_3)
	v_mul_lo_u32 v9, s19, v0
	v_mad_co_u64_u32 v[7:8], null, s18, v0, 0
	v_mul_lo_u32 v10, s18, v4
	s_delay_alu instid0(VALU_DEP_2) | instskip(NEXT) | instid1(VALU_DEP_2)
	v_sub_co_u32 v7, vcc_lo, v5, v7
	v_add3_u32 v8, v8, v10, v9
	s_delay_alu instid0(VALU_DEP_1) | instskip(SKIP_1) | instid1(VALU_DEP_1)
	v_sub_nc_u32_e32 v9, v6, v8
	s_wait_alu 0xfffd
	v_subrev_co_ci_u32_e64 v9, s2, s19, v9, vcc_lo
	v_add_co_u32 v10, s2, v0, 2
	s_wait_alu 0xf1ff
	v_add_co_ci_u32_e64 v11, s2, 0, v4, s2
	v_sub_co_u32 v12, s2, v7, s18
	v_sub_co_ci_u32_e32 v8, vcc_lo, v6, v8, vcc_lo
	s_wait_alu 0xf1ff
	v_subrev_co_ci_u32_e64 v9, s2, 0, v9, s2
	s_delay_alu instid0(VALU_DEP_3) | instskip(NEXT) | instid1(VALU_DEP_3)
	v_cmp_le_u32_e32 vcc_lo, s18, v12
	v_cmp_eq_u32_e64 s2, s19, v8
	s_wait_alu 0xfffd
	v_cndmask_b32_e64 v12, 0, -1, vcc_lo
	v_cmp_le_u32_e32 vcc_lo, s19, v9
	s_wait_alu 0xfffd
	v_cndmask_b32_e64 v13, 0, -1, vcc_lo
	v_cmp_le_u32_e32 vcc_lo, s18, v7
	;; [unrolled: 3-line block ×3, first 2 shown]
	s_wait_alu 0xfffd
	v_cndmask_b32_e64 v14, 0, -1, vcc_lo
	v_cmp_eq_u32_e32 vcc_lo, s19, v9
	s_wait_alu 0xf1ff
	s_delay_alu instid0(VALU_DEP_2)
	v_cndmask_b32_e64 v7, v14, v7, s2
	s_wait_alu 0xfffd
	v_cndmask_b32_e32 v9, v13, v12, vcc_lo
	v_add_co_u32 v12, vcc_lo, v0, 1
	s_wait_alu 0xfffd
	v_add_co_ci_u32_e32 v13, vcc_lo, 0, v4, vcc_lo
	s_delay_alu instid0(VALU_DEP_3) | instskip(SKIP_1) | instid1(VALU_DEP_2)
	v_cmp_ne_u32_e32 vcc_lo, 0, v9
	s_wait_alu 0xfffd
	v_dual_cndmask_b32 v8, v13, v11 :: v_dual_cndmask_b32 v9, v12, v10
	v_cmp_ne_u32_e32 vcc_lo, 0, v7
	s_wait_alu 0xfffd
	s_delay_alu instid0(VALU_DEP_2) | instskip(NEXT) | instid1(VALU_DEP_3)
	v_cndmask_b32_e32 v8, v4, v8, vcc_lo
	v_cndmask_b32_e32 v7, v0, v9, vcc_lo
.LBB0_4:                                ;   in Loop: Header=BB0_2 Depth=1
	s_wait_alu 0xfffe
	s_and_not1_saveexec_b32 s2, s20
	s_cbranch_execz .LBB0_6
; %bb.5:                                ;   in Loop: Header=BB0_2 Depth=1
	v_cvt_f32_u32_e32 v0, s18
	s_sub_co_i32 s20, 0, s18
	s_delay_alu instid0(VALU_DEP_1) | instskip(NEXT) | instid1(TRANS32_DEP_1)
	v_rcp_iflag_f32_e32 v0, v0
	v_mul_f32_e32 v0, 0x4f7ffffe, v0
	s_delay_alu instid0(VALU_DEP_1) | instskip(SKIP_1) | instid1(VALU_DEP_1)
	v_cvt_u32_f32_e32 v0, v0
	s_wait_alu 0xfffe
	v_mul_lo_u32 v4, s20, v0
	s_delay_alu instid0(VALU_DEP_1) | instskip(NEXT) | instid1(VALU_DEP_1)
	v_mul_hi_u32 v4, v0, v4
	v_add_nc_u32_e32 v0, v0, v4
	s_delay_alu instid0(VALU_DEP_1) | instskip(NEXT) | instid1(VALU_DEP_1)
	v_mul_hi_u32 v0, v5, v0
	v_mul_lo_u32 v4, v0, s18
	v_add_nc_u32_e32 v7, 1, v0
	s_delay_alu instid0(VALU_DEP_2) | instskip(NEXT) | instid1(VALU_DEP_1)
	v_sub_nc_u32_e32 v4, v5, v4
	v_subrev_nc_u32_e32 v8, s18, v4
	v_cmp_le_u32_e32 vcc_lo, s18, v4
	s_wait_alu 0xfffd
	s_delay_alu instid0(VALU_DEP_2) | instskip(SKIP_2) | instid1(VALU_DEP_3)
	v_cndmask_b32_e32 v4, v4, v8, vcc_lo
	v_mov_b32_e32 v8, v3
	v_cndmask_b32_e32 v0, v0, v7, vcc_lo
	v_cmp_le_u32_e32 vcc_lo, s18, v4
	s_delay_alu instid0(VALU_DEP_2) | instskip(SKIP_1) | instid1(VALU_DEP_1)
	v_add_nc_u32_e32 v7, 1, v0
	s_wait_alu 0xfffd
	v_cndmask_b32_e32 v7, v0, v7, vcc_lo
.LBB0_6:                                ;   in Loop: Header=BB0_2 Depth=1
	s_wait_alu 0xfffe
	s_or_b32 exec_lo, exec_lo, s2
	s_load_b64 s[20:21], s[12:13], 0x0
	v_mul_lo_u32 v0, v8, s18
	v_mul_lo_u32 v4, v7, s19
	v_mad_co_u64_u32 v[9:10], null, v7, s18, 0
	s_add_nc_u64 s[16:17], s[16:17], 1
	s_add_nc_u64 s[12:13], s[12:13], 8
	s_wait_alu 0xfffe
	v_cmp_ge_u64_e64 s2, s[16:17], s[6:7]
	s_add_nc_u64 s[14:15], s[14:15], 8
	s_delay_alu instid0(VALU_DEP_2) | instskip(NEXT) | instid1(VALU_DEP_3)
	v_add3_u32 v0, v10, v4, v0
	v_sub_co_u32 v4, vcc_lo, v5, v9
	s_wait_alu 0xfffd
	s_delay_alu instid0(VALU_DEP_2) | instskip(SKIP_3) | instid1(VALU_DEP_2)
	v_sub_co_ci_u32_e32 v0, vcc_lo, v6, v0, vcc_lo
	s_and_b32 vcc_lo, exec_lo, s2
	s_wait_kmcnt 0x0
	v_mul_lo_u32 v5, s21, v4
	v_mul_lo_u32 v0, s20, v0
	v_mad_co_u64_u32 v[1:2], null, s20, v4, v[1:2]
	s_delay_alu instid0(VALU_DEP_1)
	v_add3_u32 v2, v5, v2, v0
	s_wait_alu 0xfffe
	s_cbranch_vccnz .LBB0_9
; %bb.7:                                ;   in Loop: Header=BB0_2 Depth=1
	v_dual_mov_b32 v5, v7 :: v_dual_mov_b32 v6, v8
	s_branch .LBB0_2
.LBB0_8:
	v_dual_mov_b32 v8, v6 :: v_dual_mov_b32 v7, v5
.LBB0_9:
	s_lshl_b64 s[2:3], s[6:7], 3
	v_dual_mov_b32 v5, v133 :: v_dual_mov_b32 v6, v134
	s_wait_alu 0xfffe
	s_add_nc_u64 s[2:3], s[10:11], s[2:3]
	s_load_b64 s[2:3], s[2:3], 0x0
	s_load_b64 s[0:1], s[0:1], 0x20
	v_mov_b32_e32 v105, v133
	s_wait_kmcnt 0x0
	v_mul_lo_u32 v0, s2, v8
	v_mul_lo_u32 v3, s3, v7
	v_mad_co_u64_u32 v[1:2], null, s2, v7, v[1:2]
	v_cmp_gt_u64_e32 vcc_lo, s[0:1], v[7:8]
	s_delay_alu instid0(VALU_DEP_2) | instskip(NEXT) | instid1(VALU_DEP_1)
	v_add3_u32 v2, v3, v2, v0
	v_lshlrev_b64_e32 v[0:1], 4, v[1:2]
	scratch_store_b64 off, v[0:1], off      ; 8-byte Folded Spill
	s_and_saveexec_b32 s1, vcc_lo
	s_cbranch_execz .LBB0_13
; %bb.10:
	scratch_load_b64 v[1:2], off, off       ; 8-byte Folded Reload
	v_lshlrev_b32_e32 v0, 4, v133
	s_delay_alu instid0(VALU_DEP_1)
	v_or_b32_e32 v107, 0x3800, v0
	v_or_b32_e32 v108, 0x7800, v0
	s_wait_loadcnt 0x0
	v_add_co_u32 v1, s0, s8, v1
	s_wait_alu 0xf1ff
	v_add_co_ci_u32_e64 v2, s0, s9, v2, s0
	s_delay_alu instid0(VALU_DEP_2) | instskip(SKIP_1) | instid1(VALU_DEP_2)
	v_add_co_u32 v3, s0, v1, v0
	s_wait_alu 0xf1ff
	v_add_co_ci_u32_e64 v4, s0, 0, v2, s0
	v_add_co_u32 v5, s0, v1, v107
	v_or_b32_e32 v0, 0xb800, v0
	s_wait_alu 0xf1ff
	v_add_co_ci_u32_e64 v6, s0, 0, v2, s0
	v_add_co_u32 v103, s0, v1, v108
	s_wait_alu 0xf1ff
	v_add_co_ci_u32_e64 v104, s0, 0, v2, s0
	v_add_co_u32 v105, s0, v1, v0
	s_clause 0x11
	global_load_b128 v[7:10], v[3:4], off offset:2048
	global_load_b128 v[11:14], v[3:4], off offset:4096
	;; [unrolled: 1-line block ×18, first 2 shown]
	s_wait_alu 0xf1ff
	v_add_co_ci_u32_e64 v106, s0, 0, v2, s0
	s_clause 0xb
	global_load_b128 v[79:82], v[3:4], off offset:45056
	global_load_b128 v[83:86], v[3:4], off offset:49152
	;; [unrolled: 1-line block ×6, first 2 shown]
	global_load_b128 v[109:112], v[5:6], off
	global_load_b128 v[113:116], v[3:4], off offset:28672
	global_load_b128 v[117:120], v[103:104], off
	global_load_b128 v[121:124], v[105:106], off
	;; [unrolled: 1-line block ×3, first 2 shown]
	global_load_b128 v[129:132], v[3:4], off offset:59392
	v_mov_b32_e32 v105, v133
	v_lshl_add_u32 v3, v133, 4, 0
	v_cmp_eq_u32_e64 s0, 0x7f, v133
	v_dual_mov_b32 v5, v133 :: v_dual_mov_b32 v6, v134
	v_add_nc_u32_e32 v4, 0, v107
	v_add_nc_u32_e32 v6, 0, v108
	;; [unrolled: 1-line block ×3, first 2 shown]
	s_wait_loadcnt 0x1d
	ds_store_b128 v3, v[7:10] offset:2048
	s_wait_loadcnt 0x1c
	ds_store_b128 v3, v[11:14] offset:4096
	;; [unrolled: 2-line block ×24, first 2 shown]
	s_wait_loadcnt 0x5
	ds_store_b128 v4, v[109:112]
	s_wait_loadcnt 0x4
	ds_store_b128 v3, v[113:116] offset:28672
	s_wait_loadcnt 0x3
	ds_store_b128 v6, v[117:120]
	s_wait_loadcnt 0x2
	ds_store_b128 v0, v[121:124]
	;; [unrolled: 2-line block ×3, first 2 shown]
	s_wait_loadcnt 0x0
	ds_store_b128 v3, v[129:132] offset:59392
	s_and_saveexec_b32 s2, s0
	s_cbranch_execz .LBB0_12
; %bb.11:
	global_load_b128 v[1:4], v[1:2], off offset:61440
	v_dual_mov_b32 v0, 0 :: v_dual_mov_b32 v5, 0x7f
	v_dual_mov_b32 v6, 0 :: v_dual_mov_b32 v105, 0x7f
	s_wait_loadcnt 0x0
	ds_store_b128 v0, v[1:4] offset:61440
.LBB0_12:
	s_wait_alu 0xfffe
	s_or_b32 exec_lo, exec_lo, s2
.LBB0_13:
	s_wait_alu 0xfffe
	s_or_b32 exec_lo, exec_lo, s1
	v_lshlrev_b32_e32 v231, 4, v105
	global_wb scope:SCOPE_SE
	s_wait_storecnt_dscnt 0x0
	s_barrier_signal -1
	s_barrier_wait -1
	global_inv scope:SCOPE_SE
	v_add_nc_u32_e32 v106, 0, v231
	v_sub_nc_u32_e32 v10, 0, v231
	v_cmp_ne_u32_e64 s0, 0, v105
	v_lshlrev_b32_e32 v0, 4, v5
	ds_load_b64 v[6:7], v106
	ds_load_b64 v[8:9], v10 offset:61440
	s_wait_dscnt 0x0
	v_add_f64_e32 v[1:2], v[6:7], v[8:9]
	v_add_f64_e64 v[3:4], v[6:7], -v[8:9]
	s_and_saveexec_b32 s1, s0
	s_wait_alu 0xfffe
	s_xor_b32 s0, exec_lo, s1
	s_cbranch_execz .LBB0_15
; %bb.14:
	global_load_b128 v[11:14], v0, s[4:5] offset:61280
	ds_load_b64 v[1:2], v10 offset:61448
	ds_load_b64 v[3:4], v106 offset:8
	v_add_f64_e32 v[15:16], v[6:7], v[8:9]
	v_add_f64_e64 v[17:18], v[6:7], -v[8:9]
	s_wait_dscnt 0x0
	v_add_f64_e32 v[5:6], v[1:2], v[3:4]
	v_add_f64_e64 v[1:2], v[3:4], -v[1:2]
	s_wait_loadcnt 0x0
	s_delay_alu instid0(VALU_DEP_3) | instskip(SKIP_1) | instid1(VALU_DEP_3)
	v_fma_f64 v[3:4], v[17:18], v[13:14], v[15:16]
	v_fma_f64 v[7:8], -v[17:18], v[13:14], v[15:16]
	v_fma_f64 v[15:16], v[5:6], v[13:14], -v[1:2]
	v_fma_f64 v[13:14], v[5:6], v[13:14], v[1:2]
	s_delay_alu instid0(VALU_DEP_4) | instskip(NEXT) | instid1(VALU_DEP_4)
	v_fma_f64 v[1:2], -v[5:6], v[11:12], v[3:4]
	v_fma_f64 v[5:6], v[5:6], v[11:12], v[7:8]
	s_delay_alu instid0(VALU_DEP_4) | instskip(NEXT) | instid1(VALU_DEP_4)
	v_fma_f64 v[7:8], v[17:18], v[11:12], v[15:16]
	v_fma_f64 v[3:4], v[17:18], v[11:12], v[13:14]
	ds_store_b128 v10, v[5:8] offset:61440
.LBB0_15:
	s_wait_alu 0xfffe
	s_or_saveexec_b32 s0, s0
	scratch_store_b32 off, v0, off offset:8 ; 4-byte Folded Spill
	s_wait_alu 0xfffe
	s_xor_b32 exec_lo, exec_lo, s0
	s_cbranch_execz .LBB0_17
; %bb.16:
	v_mov_b32_e32 v0, 0
	ds_load_b128 v[5:8], v0 offset:30720
	s_wait_dscnt 0x0
	v_add_f64_e32 v[5:6], v[5:6], v[5:6]
	v_mul_f64_e32 v[7:8], -2.0, v[7:8]
	ds_store_b128 v0, v[5:8] offset:30720
.LBB0_17:
	s_or_b32 exec_lo, exec_lo, s0
	s_add_nc_u64 s[0:1], s[4:5], 0xef60
	v_or_b32_e32 v0, 0x380, v133
	s_clause 0x1
	global_load_b128 v[5:8], v231, s[0:1] offset:2048
	global_load_b128 v[11:14], v231, s[0:1] offset:4096
	ds_store_b128 v106, v[1:4]
	ds_load_b128 v[1:4], v106 offset:2048
	ds_load_b128 v[15:18], v10 offset:59392
	s_mov_b32 s18, 0x134454ff
	s_mov_b32 s19, 0xbfee6f0e
	;; [unrolled: 1-line block ×3, first 2 shown]
	s_wait_alu 0xfffe
	s_mov_b32 s2, s18
	s_mov_b32 s16, 0x4755a5e
	;; [unrolled: 1-line block ×6, first 2 shown]
	s_wait_alu 0xfffe
	s_mov_b32 s12, s6
	s_mov_b32 s14, 0x9b97f4a8
	;; [unrolled: 1-line block ×5, first 2 shown]
	s_wait_dscnt 0x0
	v_add_f64_e32 v[19:20], v[1:2], v[15:16]
	v_add_f64_e32 v[21:22], v[17:18], v[3:4]
	v_add_f64_e64 v[23:24], v[1:2], -v[15:16]
	v_add_f64_e64 v[15:16], v[3:4], -v[17:18]
	global_load_b128 v[1:4], v231, s[0:1] offset:6144
	s_wait_loadcnt 0x2
	v_fma_f64 v[17:18], v[23:24], v[7:8], v[19:20]
	v_fma_f64 v[25:26], v[21:22], v[7:8], v[15:16]
	v_fma_f64 v[19:20], -v[23:24], v[7:8], v[19:20]
	v_fma_f64 v[7:8], v[21:22], v[7:8], -v[15:16]
	s_delay_alu instid0(VALU_DEP_4) | instskip(NEXT) | instid1(VALU_DEP_4)
	v_fma_f64 v[15:16], -v[21:22], v[5:6], v[17:18]
	v_fma_f64 v[17:18], v[23:24], v[5:6], v[25:26]
	s_delay_alu instid0(VALU_DEP_4) | instskip(NEXT) | instid1(VALU_DEP_4)
	v_fma_f64 v[19:20], v[21:22], v[5:6], v[19:20]
	v_fma_f64 v[21:22], v[23:24], v[5:6], v[7:8]
	ds_store_b128 v106, v[15:18] offset:2048
	ds_store_b128 v10, v[19:22] offset:59392
	ds_load_b128 v[5:8], v106 offset:4096
	ds_load_b128 v[15:18], v10 offset:57344
	global_load_b128 v[19:22], v231, s[0:1] offset:8192
	s_wait_dscnt 0x0
	v_add_f64_e32 v[23:24], v[5:6], v[15:16]
	v_add_f64_e32 v[25:26], v[17:18], v[7:8]
	v_add_f64_e64 v[15:16], v[5:6], -v[15:16]
	v_add_f64_e64 v[5:6], v[7:8], -v[17:18]
	s_wait_loadcnt 0x2
	s_delay_alu instid0(VALU_DEP_2) | instskip(NEXT) | instid1(VALU_DEP_2)
	v_fma_f64 v[7:8], v[15:16], v[13:14], v[23:24]
	v_fma_f64 v[17:18], v[25:26], v[13:14], v[5:6]
	v_fma_f64 v[23:24], -v[15:16], v[13:14], v[23:24]
	v_fma_f64 v[27:28], v[25:26], v[13:14], -v[5:6]
	s_delay_alu instid0(VALU_DEP_4) | instskip(NEXT) | instid1(VALU_DEP_4)
	v_fma_f64 v[5:6], -v[25:26], v[11:12], v[7:8]
	v_fma_f64 v[7:8], v[15:16], v[11:12], v[17:18]
	s_delay_alu instid0(VALU_DEP_4) | instskip(NEXT) | instid1(VALU_DEP_4)
	v_fma_f64 v[13:14], v[25:26], v[11:12], v[23:24]
	v_fma_f64 v[15:16], v[15:16], v[11:12], v[27:28]
	ds_store_b128 v106, v[5:8] offset:4096
	ds_store_b128 v10, v[13:16] offset:57344
	ds_load_b128 v[5:8], v106 offset:6144
	ds_load_b128 v[11:14], v10 offset:55296
	global_load_b128 v[15:18], v231, s[0:1] offset:10240
	s_wait_dscnt 0x0
	v_add_f64_e32 v[23:24], v[5:6], v[11:12]
	v_add_f64_e32 v[25:26], v[13:14], v[7:8]
	v_add_f64_e64 v[27:28], v[5:6], -v[11:12]
	v_add_f64_e64 v[5:6], v[7:8], -v[13:14]
	s_wait_loadcnt 0x2
	s_delay_alu instid0(VALU_DEP_2) | instskip(NEXT) | instid1(VALU_DEP_2)
	;; [unrolled: 22-line block ×3, first 2 shown]
	v_fma_f64 v[3:4], v[27:28], v[21:22], v[23:24]
	v_fma_f64 v[5:6], v[25:26], v[21:22], v[1:2]
	v_fma_f64 v[7:8], -v[27:28], v[21:22], v[23:24]
	v_fma_f64 v[21:22], v[25:26], v[21:22], -v[1:2]
	s_delay_alu instid0(VALU_DEP_4) | instskip(NEXT) | instid1(VALU_DEP_4)
	v_fma_f64 v[1:2], -v[25:26], v[19:20], v[3:4]
	v_fma_f64 v[3:4], v[27:28], v[19:20], v[5:6]
	s_delay_alu instid0(VALU_DEP_4) | instskip(NEXT) | instid1(VALU_DEP_4)
	v_fma_f64 v[5:6], v[25:26], v[19:20], v[7:8]
	v_fma_f64 v[7:8], v[27:28], v[19:20], v[21:22]
	ds_store_b128 v106, v[1:4] offset:8192
	ds_store_b128 v10, v[5:8] offset:53248
	ds_load_b128 v[5:8], v106 offset:10240
	ds_load_b128 v[19:22], v10 offset:51200
	scratch_store_b32 off, v0, off offset:28 ; 4-byte Folded Spill
	v_lshlrev_b32_e32 v0, 4, v0
	global_load_b128 v[1:4], v0, s[4:5] offset:61280
	scratch_store_b32 off, v0, off offset:12 ; 4-byte Folded Spill
	v_add_nc_u32_e32 v0, 0, v0
	s_wait_dscnt 0x0
	v_add_f64_e32 v[23:24], v[5:6], v[19:20]
	v_add_f64_e32 v[25:26], v[21:22], v[7:8]
	v_add_f64_e64 v[19:20], v[5:6], -v[19:20]
	v_add_f64_e64 v[5:6], v[7:8], -v[21:22]
	s_wait_loadcnt 0x2
	s_delay_alu instid0(VALU_DEP_2) | instskip(NEXT) | instid1(VALU_DEP_2)
	v_fma_f64 v[7:8], v[19:20], v[17:18], v[23:24]
	v_fma_f64 v[21:22], v[25:26], v[17:18], v[5:6]
	v_fma_f64 v[23:24], -v[19:20], v[17:18], v[23:24]
	v_fma_f64 v[27:28], v[25:26], v[17:18], -v[5:6]
	s_delay_alu instid0(VALU_DEP_4) | instskip(NEXT) | instid1(VALU_DEP_4)
	v_fma_f64 v[5:6], -v[25:26], v[15:16], v[7:8]
	v_fma_f64 v[7:8], v[19:20], v[15:16], v[21:22]
	s_delay_alu instid0(VALU_DEP_4) | instskip(NEXT) | instid1(VALU_DEP_4)
	v_fma_f64 v[17:18], v[25:26], v[15:16], v[23:24]
	v_fma_f64 v[19:20], v[19:20], v[15:16], v[27:28]
	ds_store_b128 v106, v[5:8] offset:10240
	ds_store_b128 v10, v[17:20] offset:51200
	ds_load_b128 v[5:8], v106 offset:12288
	ds_load_b128 v[15:18], v10 offset:49152
	s_wait_dscnt 0x0
	v_add_f64_e32 v[19:20], v[5:6], v[15:16]
	v_add_f64_e32 v[21:22], v[17:18], v[7:8]
	v_add_f64_e64 v[23:24], v[5:6], -v[15:16]
	v_add_f64_e64 v[15:16], v[7:8], -v[17:18]
	global_load_b128 v[5:8], v231, s[0:1] offset:16384
	s_wait_loadcnt 0x2
	v_fma_f64 v[17:18], v[23:24], v[13:14], v[19:20]
	v_fma_f64 v[25:26], v[21:22], v[13:14], v[15:16]
	v_fma_f64 v[19:20], -v[23:24], v[13:14], v[19:20]
	v_fma_f64 v[27:28], v[21:22], v[13:14], -v[15:16]
	s_delay_alu instid0(VALU_DEP_4) | instskip(NEXT) | instid1(VALU_DEP_4)
	v_fma_f64 v[13:14], -v[21:22], v[11:12], v[17:18]
	v_fma_f64 v[15:16], v[23:24], v[11:12], v[25:26]
	s_delay_alu instid0(VALU_DEP_4) | instskip(NEXT) | instid1(VALU_DEP_4)
	v_fma_f64 v[17:18], v[21:22], v[11:12], v[19:20]
	v_fma_f64 v[19:20], v[23:24], v[11:12], v[27:28]
	ds_store_b128 v106, v[13:16] offset:12288
	ds_store_b128 v10, v[17:20] offset:49152
	ds_load_b128 v[11:14], v0
	ds_load_b128 v[15:18], v10 offset:47104
	global_load_b128 v[19:22], v231, s[0:1] offset:18432
	scratch_store_b32 off, v0, off offset:24 ; 4-byte Folded Spill
	s_wait_dscnt 0x0
	v_add_f64_e32 v[23:24], v[11:12], v[15:16]
	v_add_f64_e32 v[25:26], v[17:18], v[13:14]
	v_add_f64_e64 v[27:28], v[11:12], -v[15:16]
	v_add_f64_e64 v[15:16], v[13:14], -v[17:18]
	global_load_b128 v[11:14], v231, s[0:1] offset:28672
	s_wait_loadcnt 0x3
	v_fma_f64 v[17:18], v[27:28], v[3:4], v[23:24]
	v_fma_f64 v[29:30], v[25:26], v[3:4], v[15:16]
	v_fma_f64 v[23:24], -v[27:28], v[3:4], v[23:24]
	v_fma_f64 v[3:4], v[25:26], v[3:4], -v[15:16]
	s_delay_alu instid0(VALU_DEP_4) | instskip(NEXT) | instid1(VALU_DEP_4)
	v_fma_f64 v[15:16], -v[25:26], v[1:2], v[17:18]
	v_fma_f64 v[17:18], v[27:28], v[1:2], v[29:30]
	s_delay_alu instid0(VALU_DEP_4) | instskip(NEXT) | instid1(VALU_DEP_4)
	v_fma_f64 v[23:24], v[25:26], v[1:2], v[23:24]
	v_fma_f64 v[25:26], v[27:28], v[1:2], v[3:4]
	ds_store_b128 v0, v[15:18]
	ds_store_b128 v10, v[23:26] offset:47104
	ds_load_b128 v[1:4], v106 offset:16384
	ds_load_b128 v[15:18], v10 offset:45056
	s_wait_dscnt 0x0
	v_add_f64_e32 v[23:24], v[1:2], v[15:16]
	v_add_f64_e32 v[25:26], v[17:18], v[3:4]
	v_add_f64_e64 v[27:28], v[1:2], -v[15:16]
	v_add_f64_e64 v[15:16], v[3:4], -v[17:18]
	global_load_b128 v[1:4], v231, s[0:1] offset:20480
	s_wait_loadcnt 0x3
	v_fma_f64 v[17:18], v[27:28], v[7:8], v[23:24]
	v_fma_f64 v[29:30], v[25:26], v[7:8], v[15:16]
	v_fma_f64 v[23:24], -v[27:28], v[7:8], v[23:24]
	v_fma_f64 v[7:8], v[25:26], v[7:8], -v[15:16]
	s_delay_alu instid0(VALU_DEP_4) | instskip(NEXT) | instid1(VALU_DEP_4)
	v_fma_f64 v[15:16], -v[25:26], v[5:6], v[17:18]
	v_fma_f64 v[17:18], v[27:28], v[5:6], v[29:30]
	s_delay_alu instid0(VALU_DEP_4) | instskip(NEXT) | instid1(VALU_DEP_4)
	v_fma_f64 v[23:24], v[25:26], v[5:6], v[23:24]
	v_fma_f64 v[25:26], v[27:28], v[5:6], v[7:8]
	ds_store_b128 v106, v[15:18] offset:16384
	ds_store_b128 v10, v[23:26] offset:45056
	ds_load_b128 v[5:8], v106 offset:18432
	ds_load_b128 v[15:18], v10 offset:43008
	global_load_b128 v[23:26], v231, s[0:1] offset:22528
	s_wait_dscnt 0x0
	v_add_f64_e32 v[27:28], v[5:6], v[15:16]
	v_add_f64_e32 v[29:30], v[17:18], v[7:8]
	v_add_f64_e64 v[31:32], v[5:6], -v[15:16]
	v_add_f64_e64 v[5:6], v[7:8], -v[17:18]
	s_wait_loadcnt 0x3
	s_delay_alu instid0(VALU_DEP_2) | instskip(NEXT) | instid1(VALU_DEP_2)
	v_fma_f64 v[7:8], v[31:32], v[21:22], v[27:28]
	v_fma_f64 v[15:16], v[29:30], v[21:22], v[5:6]
	v_fma_f64 v[17:18], -v[31:32], v[21:22], v[27:28]
	v_fma_f64 v[21:22], v[29:30], v[21:22], -v[5:6]
	s_delay_alu instid0(VALU_DEP_4) | instskip(NEXT) | instid1(VALU_DEP_4)
	v_fma_f64 v[5:6], -v[29:30], v[19:20], v[7:8]
	v_fma_f64 v[7:8], v[31:32], v[19:20], v[15:16]
	s_delay_alu instid0(VALU_DEP_4) | instskip(NEXT) | instid1(VALU_DEP_4)
	v_fma_f64 v[15:16], v[29:30], v[19:20], v[17:18]
	v_fma_f64 v[17:18], v[31:32], v[19:20], v[21:22]
	ds_store_b128 v106, v[5:8] offset:18432
	ds_store_b128 v10, v[15:18] offset:43008
	ds_load_b128 v[5:8], v106 offset:20480
	ds_load_b128 v[15:18], v10 offset:40960
	global_load_b128 v[19:22], v231, s[0:1] offset:24576
	s_wait_dscnt 0x0
	v_add_f64_e32 v[27:28], v[5:6], v[15:16]
	v_add_f64_e32 v[29:30], v[17:18], v[7:8]
	v_add_f64_e64 v[31:32], v[5:6], -v[15:16]
	v_add_f64_e64 v[5:6], v[7:8], -v[17:18]
	s_wait_loadcnt 0x2
	s_delay_alu instid0(VALU_DEP_2) | instskip(NEXT) | instid1(VALU_DEP_2)
	v_fma_f64 v[7:8], v[31:32], v[3:4], v[27:28]
	v_fma_f64 v[15:16], v[29:30], v[3:4], v[5:6]
	v_fma_f64 v[17:18], -v[31:32], v[3:4], v[27:28]
	v_fma_f64 v[27:28], v[29:30], v[3:4], -v[5:6]
	s_delay_alu instid0(VALU_DEP_4) | instskip(NEXT) | instid1(VALU_DEP_4)
	v_fma_f64 v[3:4], -v[29:30], v[1:2], v[7:8]
	v_fma_f64 v[5:6], v[31:32], v[1:2], v[15:16]
	s_delay_alu instid0(VALU_DEP_4) | instskip(NEXT) | instid1(VALU_DEP_4)
	v_fma_f64 v[15:16], v[29:30], v[1:2], v[17:18]
	v_fma_f64 v[17:18], v[31:32], v[1:2], v[27:28]
	ds_store_b128 v106, v[3:6] offset:20480
	ds_store_b128 v10, v[15:18] offset:40960
	ds_load_b128 v[1:4], v106 offset:22528
	ds_load_b128 v[5:8], v10 offset:38912
	global_load_b128 v[15:18], v231, s[0:1] offset:26624
	s_mov_b32 s1, 0x3fe2cf23
	s_mov_b32 s0, s16
	s_wait_dscnt 0x0
	v_add_f64_e32 v[27:28], v[1:2], v[5:6]
	v_add_f64_e32 v[29:30], v[7:8], v[3:4]
	v_add_f64_e64 v[31:32], v[1:2], -v[5:6]
	v_add_f64_e64 v[1:2], v[3:4], -v[7:8]
	s_wait_loadcnt 0x2
	s_delay_alu instid0(VALU_DEP_2) | instskip(NEXT) | instid1(VALU_DEP_2)
	v_fma_f64 v[3:4], v[31:32], v[25:26], v[27:28]
	v_fma_f64 v[5:6], v[29:30], v[25:26], v[1:2]
	v_fma_f64 v[7:8], -v[31:32], v[25:26], v[27:28]
	v_fma_f64 v[25:26], v[29:30], v[25:26], -v[1:2]
	s_delay_alu instid0(VALU_DEP_4) | instskip(NEXT) | instid1(VALU_DEP_4)
	v_fma_f64 v[1:2], -v[29:30], v[23:24], v[3:4]
	v_fma_f64 v[3:4], v[31:32], v[23:24], v[5:6]
	s_delay_alu instid0(VALU_DEP_4) | instskip(NEXT) | instid1(VALU_DEP_4)
	v_fma_f64 v[5:6], v[29:30], v[23:24], v[7:8]
	v_fma_f64 v[7:8], v[31:32], v[23:24], v[25:26]
	ds_store_b128 v106, v[1:4] offset:22528
	ds_store_b128 v10, v[5:8] offset:38912
	ds_load_b128 v[1:4], v106 offset:24576
	ds_load_b128 v[5:8], v10 offset:36864
	s_wait_dscnt 0x0
	v_add_f64_e32 v[23:24], v[1:2], v[5:6]
	v_add_f64_e32 v[25:26], v[7:8], v[3:4]
	v_add_f64_e64 v[27:28], v[1:2], -v[5:6]
	v_add_f64_e64 v[1:2], v[3:4], -v[7:8]
	s_wait_loadcnt 0x1
	s_delay_alu instid0(VALU_DEP_2) | instskip(NEXT) | instid1(VALU_DEP_2)
	v_fma_f64 v[3:4], v[27:28], v[21:22], v[23:24]
	v_fma_f64 v[5:6], v[25:26], v[21:22], v[1:2]
	v_fma_f64 v[7:8], -v[27:28], v[21:22], v[23:24]
	v_fma_f64 v[21:22], v[25:26], v[21:22], -v[1:2]
	s_delay_alu instid0(VALU_DEP_4) | instskip(NEXT) | instid1(VALU_DEP_4)
	v_fma_f64 v[1:2], -v[25:26], v[19:20], v[3:4]
	v_fma_f64 v[3:4], v[27:28], v[19:20], v[5:6]
	s_delay_alu instid0(VALU_DEP_4) | instskip(NEXT) | instid1(VALU_DEP_4)
	v_fma_f64 v[5:6], v[25:26], v[19:20], v[7:8]
	v_fma_f64 v[7:8], v[27:28], v[19:20], v[21:22]
	ds_store_b128 v106, v[1:4] offset:24576
	ds_store_b128 v10, v[5:8] offset:36864
	ds_load_b128 v[1:4], v106 offset:26624
	ds_load_b128 v[5:8], v10 offset:34816
	;; [unrolled: 21-line block ×3, first 2 shown]
	s_wait_dscnt 0x0
	v_add_f64_e32 v[15:16], v[1:2], v[5:6]
	v_add_f64_e32 v[17:18], v[7:8], v[3:4]
	v_add_f64_e64 v[19:20], v[1:2], -v[5:6]
	v_add_f64_e64 v[1:2], v[3:4], -v[7:8]
	s_delay_alu instid0(VALU_DEP_2) | instskip(NEXT) | instid1(VALU_DEP_2)
	v_fma_f64 v[3:4], v[19:20], v[13:14], v[15:16]
	v_fma_f64 v[5:6], v[17:18], v[13:14], v[1:2]
	v_fma_f64 v[7:8], -v[19:20], v[13:14], v[15:16]
	v_fma_f64 v[13:14], v[17:18], v[13:14], -v[1:2]
	s_delay_alu instid0(VALU_DEP_4) | instskip(NEXT) | instid1(VALU_DEP_4)
	v_fma_f64 v[1:2], -v[17:18], v[11:12], v[3:4]
	v_fma_f64 v[3:4], v[19:20], v[11:12], v[5:6]
	s_delay_alu instid0(VALU_DEP_4) | instskip(NEXT) | instid1(VALU_DEP_4)
	v_fma_f64 v[5:6], v[17:18], v[11:12], v[7:8]
	v_fma_f64 v[7:8], v[19:20], v[11:12], v[13:14]
	ds_store_b128 v106, v[1:4] offset:28672
	ds_store_b128 v10, v[5:8] offset:32768
	global_wb scope:SCOPE_SE
	s_wait_storecnt_dscnt 0x0
	s_barrier_signal -1
	s_barrier_wait -1
	global_inv scope:SCOPE_SE
	global_wb scope:SCOPE_SE
	s_barrier_signal -1
	s_barrier_wait -1
	global_inv scope:SCOPE_SE
	ds_load_b128 v[45:48], v106
	ds_load_b128 v[49:52], v106 offset:2048
	ds_load_b128 v[85:88], v106 offset:12288
	;; [unrolled: 1-line block ×29, first 2 shown]
	s_wait_dscnt 0x1a
	v_add_f64_e32 v[143:144], v[49:50], v[53:54]
	v_add_f64_e32 v[113:114], v[45:46], v[85:86]
	s_wait_dscnt 0x11
	v_add_f64_e32 v[129:130], v[77:78], v[109:110]
	v_add_f64_e32 v[119:120], v[47:48], v[87:88]
	;; [unrolled: 1-line block ×3, first 2 shown]
	v_add_f64_e64 v[139:140], v[85:86], -v[81:82]
	s_wait_dscnt 0xd
	v_add_f64_e32 v[137:138], v[91:92], v[27:28]
	s_wait_dscnt 0xc
	v_add_f64_e32 v[189:190], v[75:76], v[23:24]
	;; [unrolled: 2-line block ×4, first 2 shown]
	v_add_f64_e64 v[173:174], v[5:6], -v[57:58]
	v_add_f64_e32 v[123:124], v[85:86], v[5:6]
	v_add_f64_e32 v[125:126], v[83:84], v[59:60]
	s_wait_dscnt 0x6
	v_add_f64_e32 v[0:1], v[161:162], v[205:206]
	v_add_f64_e32 v[107:108], v[159:160], v[203:204]
	;; [unrolled: 1-line block ×3, first 2 shown]
	s_wait_dscnt 0x3
	v_add_f64_e32 v[177:178], v[167:168], v[41:42]
	v_add_f64_e32 v[131:132], v[79:80], v[111:112]
	scratch_store_b64 off, v[133:134], off offset:16 ; 8-byte Folded Spill
	v_add_f64_e32 v[133:134], v[89:90], v[25:26]
	v_add_f64_e64 v[225:226], v[89:90], -v[109:110]
	v_add_f64_e32 v[135:136], v[109:110], v[17:18]
	v_add_f64_e32 v[147:148], v[51:52], v[55:56]
	;; [unrolled: 1-line block ×5, first 2 shown]
	s_wait_dscnt 0x1
	v_add_f64_e32 v[181:182], v[163:164], v[33:34]
	v_add_f64_e32 v[185:186], v[73:74], v[21:22]
	;; [unrolled: 1-line block ×3, first 2 shown]
	s_wait_dscnt 0x0
	v_add_f64_e32 v[213:214], v[203:204], v[29:30]
	v_add_f64_e32 v[215:216], v[205:206], v[31:32]
	;; [unrolled: 1-line block ×3, first 2 shown]
	v_add_f64_e64 v[187:188], v[81:82], -v[85:86]
	v_add_f64_e64 v[199:200], v[57:58], -v[5:6]
	;; [unrolled: 1-line block ×3, first 2 shown]
	v_add_f64_e32 v[153:154], v[71:72], v[11:12]
	v_add_f64_e32 v[183:184], v[165:166], v[35:36]
	v_add_f64_e32 v[195:196], v[207:208], v[37:38]
	v_add_f64_e32 v[197:198], v[209:210], v[39:40]
	v_add_f64_e32 v[242:243], v[113:114], v[81:82]
	v_add_f64_e32 v[232:233], v[129:130], v[89:90]
	v_add_f64_e32 v[129:130], v[143:144], v[69:70]
	v_add_f64_e32 v[246:247], v[115:116], v[163:164]
	v_add_f64_e32 v[175:176], v[55:56], v[157:158]
	v_fma_f64 v[137:138], v[137:138], -0.5, v[79:80]
	v_add_f64_e64 v[227:228], v[111:112], -v[91:92]
	v_fma_f64 v[145:146], v[141:142], -0.5, v[79:80]
	v_fma_f64 v[79:80], v[189:190], -0.5, v[67:68]
	v_add_f64_e64 v[238:239], v[19:20], -v[27:28]
	v_add_f64_e32 v[244:245], v[119:120], v[83:84]
	v_add_f64_e32 v[248:249], v[117:118], v[165:166]
	v_add_f64_e64 v[97:98], v[87:88], -v[7:8]
	v_add_f64_e32 v[189:190], v[107:108], v[207:208]
	v_add_f64_e64 v[107:108], v[27:28], -v[19:20]
	v_fma_f64 v[143:144], v[177:178], -0.5, v[115:116]
	v_fma_f64 v[177:178], v[191:192], -0.5, v[65:66]
	v_add_f64_e32 v[191:192], v[0:1], v[209:210]
	v_add_f64_e64 v[0:1], v[25:26], -v[17:18]
	v_add_f64_e64 v[211:212], v[87:88], -v[83:84]
	;; [unrolled: 1-line block ×10, first 2 shown]
	v_add_f64_e32 v[131:132], v[131:132], v[91:92]
	v_add_f64_e64 v[250:251], v[71:72], -v[55:56]
	v_fma_f64 v[89:90], v[121:122], -0.5, v[45:46]
	v_fma_f64 v[119:120], v[123:124], -0.5, v[45:46]
	;; [unrolled: 1-line block ×6, first 2 shown]
	v_add_f64_e32 v[234:235], v[147:148], v[71:72]
	v_add_f64_e64 v[45:46], v[163:164], -v[167:168]
	v_add_f64_e64 v[47:48], v[167:168], -v[163:164]
	v_fma_f64 v[127:128], v[149:150], -0.5, v[49:50]
	v_fma_f64 v[141:142], v[151:152], -0.5, v[49:50]
	v_fma_f64 v[149:150], v[181:182], -0.5, v[115:116]
	v_fma_f64 v[151:152], v[179:180], -0.5, v[117:118]
	v_add_f64_e64 v[71:72], v[163:164], -v[33:34]
	v_add_f64_e64 v[179:180], v[75:76], -v[23:24]
	v_fma_f64 v[77:78], v[185:186], -0.5, v[65:66]
	v_fma_f64 v[91:92], v[193:194], -0.5, v[67:68]
	;; [unrolled: 1-line block ×4, first 2 shown]
	v_add_f64_e64 v[215:216], v[63:64], -v[75:76]
	v_add_f64_e64 v[185:186], v[75:76], -v[63:64]
	v_add_f64_e32 v[254:255], v[254:255], v[75:76]
	v_add_f64_e64 v[213:214], v[203:204], -v[207:208]
	v_add_f64_e64 v[193:194], v[207:208], -v[203:204]
	;; [unrolled: 1-line block ×3, first 2 shown]
	v_add_f64_e32 v[75:76], v[139:140], v[173:174]
	v_add_f64_e64 v[173:174], v[155:156], -v[9:10]
	v_add_f64_e64 v[203:204], v[157:158], -v[11:12]
	v_add_f64_e32 v[163:164], v[225:226], v[0:1]
	v_add_f64_e64 v[0:1], v[11:12], -v[157:158]
	v_add_f64_e64 v[221:222], v[59:60], -v[7:8]
	;; [unrolled: 1-line block ×4, first 2 shown]
	v_fma_f64 v[133:134], v[153:154], -0.5, v[51:52]
	v_add_f64_e64 v[49:50], v[167:168], -v[41:42]
	v_fma_f64 v[153:154], v[183:184], -0.5, v[117:118]
	v_fma_f64 v[83:84], v[195:196], -0.5, v[159:160]
	v_fma_f64 v[117:118], v[197:198], -0.5, v[161:162]
	v_add_f64_e32 v[246:247], v[246:247], v[167:168]
	v_add_f64_e32 v[167:168], v[242:243], v[57:58]
	v_add_f64_e64 v[197:198], v[205:206], -v[209:210]
	v_add_f64_e64 v[195:196], v[209:210], -v[205:206]
	;; [unrolled: 1-line block ×4, first 2 shown]
	v_add_f64_e32 v[161:162], v[187:188], v[199:200]
	v_add_f64_e32 v[187:188], v[229:230], v[107:108]
	v_add_f64_e64 v[229:230], v[15:16], -v[23:24]
	v_add_f64_e64 v[219:220], v[7:8], -v[59:60]
	;; [unrolled: 1-line block ×4, first 2 shown]
	v_add_f64_e32 v[252:253], v[65:66], v[61:62]
	v_fma_f64 v[147:148], v[175:176], -0.5, v[51:52]
	v_add_f64_e64 v[183:184], v[61:62], -v[73:74]
	v_add_f64_e64 v[175:176], v[73:74], -v[61:62]
	;; [unrolled: 1-line block ×10, first 2 shown]
	v_add_f64_e32 v[248:249], v[248:249], v[169:170]
	v_add_f64_e32 v[169:170], v[244:245], v[59:60]
	v_add_f64_e64 v[59:60], v[207:208], -v[37:38]
	v_add_f64_e32 v[159:160], v[227:228], v[238:239]
	v_add_f64_e64 v[207:208], v[35:36], -v[43:44]
	v_add_f64_e64 v[107:108], v[41:42], -v[33:34]
	;; [unrolled: 1-line block ×5, first 2 shown]
	v_add_f64_e32 v[171:172], v[171:172], v[173:174]
	v_add_f64_e32 v[173:174], v[240:241], v[203:204]
	v_add_f64_e32 v[203:204], v[250:251], v[0:1]
	v_mul_lo_u16 v0, 0x67, v105
	v_add_f64_e64 v[111:112], v[69:70], -v[9:10]
	v_add_f64_e64 v[69:70], v[165:166], -v[35:36]
	v_add_f64_e32 v[165:166], v[217:218], v[221:222]
	v_add_f64_e64 v[221:222], v[37:38], -v[29:30]
	v_add_f64_e64 v[51:52], v[73:74], -v[21:22]
	;; [unrolled: 1-line block ×3, first 2 shown]
	v_add_f64_e32 v[199:200], v[45:46], v[205:206]
	v_add_f64_e64 v[55:56], v[55:56], -v[157:158]
	v_add_f64_e32 v[9:10], v[129:130], v[9:10]
	v_add_f64_e32 v[45:46], v[215:216], v[229:230]
	v_lshrrev_b16 v215, 10, v0
	v_add_f64_e32 v[139:140], v[223:224], v[236:237]
	v_add_f64_e64 v[223:224], v[31:32], -v[39:40]
	v_add_f64_e32 v[252:253], v[252:253], v[73:74]
	v_add_f64_e32 v[73:74], v[211:212], v[219:220]
	v_add_f64_e64 v[211:212], v[43:44], -v[35:36]
	v_add_f64_e64 v[219:220], v[23:24], -v[15:16]
	v_mul_lo_u16 v0, v215, 10
	v_add_f64_e32 v[23:24], v[254:255], v[23:24]
	v_add_f64_e32 v[201:202], v[201:202], v[209:210]
	;; [unrolled: 1-line block ×3, first 2 shown]
	v_add_f64_e64 v[225:226], v[39:40], -v[31:32]
	v_sub_nc_u16 v0, v105, v0
	v_add_f64_e32 v[37:38], v[189:190], v[37:38]
	v_add_f64_e32 v[39:40], v[191:192], v[39:40]
	v_fma_f64 v[129:130], v[97:98], s[18:19], v[89:90]
	v_fma_f64 v[189:190], v[101:102], s[18:19], v[145:146]
	v_add_f64_e32 v[11:12], v[234:235], v[11:12]
	v_fma_f64 v[145:146], v[101:102], s[2:3], v[145:146]
	v_add_f64_e32 v[207:208], v[2:3], v[207:208]
	v_add_f64_e32 v[205:206], v[47:48], v[107:108]
	;; [unrolled: 1-line block ×3, first 2 shown]
	v_and_b32_e32 v214, 0xff, v0
	v_add_f64_e32 v[0:1], v[232:233], v[25:26]
	v_add_f64_e32 v[2:3], v[131:132], v[27:28]
	v_add_f64_e32 v[25:26], v[246:247], v[41:42]
	v_add_f64_e32 v[27:28], v[248:249], v[43:44]
	v_fma_f64 v[41:42], v[109:110], s[2:3], v[137:138]
	v_fma_f64 v[43:44], v[103:104], s[18:19], v[125:126]
	;; [unrolled: 1-line block ×4, first 2 shown]
	v_add_f64_e32 v[183:184], v[193:194], v[221:222]
	v_fma_f64 v[193:194], v[93:94], s[2:3], v[119:120]
	v_fma_f64 v[119:120], v[93:94], s[18:19], v[119:120]
	v_add_f64_e32 v[175:176], v[175:176], v[217:218]
	v_fma_f64 v[89:90], v[97:98], s[2:3], v[89:90]
	v_fma_f64 v[113:114], v[99:100], s[18:19], v[113:114]
	;; [unrolled: 1-line block ×3, first 2 shown]
	v_add_f64_e64 v[63:64], v[63:64], -v[15:16]
	v_fma_f64 v[191:192], v[85:86], s[2:3], v[135:136]
	v_add_f64_e32 v[107:108], v[197:198], v[223:224]
	v_fma_f64 v[197:198], v[71:72], s[2:3], v[151:152]
	v_add_f64_e32 v[21:22], v[252:253], v[21:22]
	v_add_f64_e32 v[211:212], v[181:182], v[211:212]
	;; [unrolled: 1-line block ×3, first 2 shown]
	v_fma_f64 v[222:223], v[49:50], s[18:19], v[153:154]
	v_fma_f64 v[153:154], v[49:50], s[2:3], v[153:154]
	;; [unrolled: 1-line block ×4, first 2 shown]
	v_add_f64_e32 v[185:186], v[195:196], v[225:226]
	v_fma_f64 v[195:196], v[95:96], s[18:19], v[121:122]
	v_fma_f64 v[121:122], v[95:96], s[2:3], v[121:122]
	;; [unrolled: 1-line block ×7, first 2 shown]
	v_add_f64_e32 v[23:24], v[23:24], v[15:16]
	v_fma_f64 v[15:16], v[51:52], s[18:19], v[91:92]
	v_fma_f64 v[91:92], v[51:52], s[2:3], v[91:92]
	v_add_f64_e32 v[31:32], v[39:40], v[31:32]
	v_add_f64_e32 v[17:18], v[0:1], v[17:18]
	;; [unrolled: 1-line block ×3, first 2 shown]
	v_fma_f64 v[0:1], v[67:68], s[2:3], v[117:118]
	v_fma_f64 v[2:3], v[57:58], s[18:19], v[83:84]
	v_add_f64_e32 v[25:26], v[25:26], v[33:34]
	v_fma_f64 v[33:34], v[59:60], s[18:19], v[123:124]
	v_fma_f64 v[123:124], v[59:60], s[2:3], v[123:124]
	;; [unrolled: 1-line block ×3, first 2 shown]
	s_wait_alu 0xfffe
	v_fma_f64 v[41:42], v[101:102], s[0:1], v[41:42]
	v_fma_f64 v[43:44], v[85:86], s[16:17], v[43:44]
	;; [unrolled: 1-line block ×6, first 2 shown]
	v_add_f64_e32 v[157:158], v[11:12], v[157:158]
	v_fma_f64 v[11:12], v[65:66], s[2:3], v[79:80]
	v_fma_f64 v[79:80], v[65:66], s[18:19], v[79:80]
	v_fma_f64 v[109:110], v[109:110], s[16:17], v[145:146]
	v_fma_f64 v[83:84], v[57:58], s[2:3], v[83:84]
	v_fma_f64 v[101:102], v[101:102], s[16:17], v[137:138]
	v_add_f64_e32 v[29:30], v[37:38], v[29:30]
	v_fma_f64 v[37:38], v[97:98], s[16:17], v[193:194]
	v_fma_f64 v[89:90], v[93:94], s[0:1], v[89:90]
	v_fma_f64 v[93:94], v[95:96], s[16:17], v[113:114]
	v_fma_f64 v[113:114], v[53:54], s[16:17], v[216:217]
	v_fma_f64 v[224:225], v[53:54], s[2:3], v[149:150]
	;; [unrolled: 6-line block ×3, first 2 shown]
	v_fma_f64 v[141:142], v[87:88], s[18:19], v[141:142]
	v_add_f64_e32 v[155:156], v[9:10], v[155:156]
	v_fma_f64 v[9:10], v[63:64], s[18:19], v[77:78]
	v_add_f64_e32 v[21:22], v[21:22], v[13:14]
	v_fma_f64 v[13:14], v[179:180], s[2:3], v[177:178]
	v_fma_f64 v[137:138], v[71:72], s[0:1], v[222:223]
	;; [unrolled: 1-line block ×3, first 2 shown]
	v_add_f64_e32 v[27:28], v[27:28], v[35:36]
	v_fma_f64 v[71:72], v[71:72], s[16:17], v[153:154]
	v_add_f64_e32 v[7:8], v[169:170], v[7:8]
	v_fma_f64 v[49:50], v[49:50], s[16:17], v[151:152]
	v_fma_f64 v[169:170], v[111:112], s[18:19], v[147:148]
	;; [unrolled: 1-line block ×35, first 2 shown]
	v_add_f64_e32 v[9:10], v[155:156], v[25:26]
	v_add_f64_e64 v[13:14], v[155:156], -v[25:26]
	v_fma_f64 v[25:26], v[211:212], s[6:7], v[137:138]
	v_fma_f64 v[69:70], v[69:70], s[0:1], v[149:150]
	v_add_f64_e32 v[11:12], v[157:158], v[27:28]
	v_add_f64_e64 v[15:16], v[157:158], -v[27:28]
	v_fma_f64 v[27:28], v[211:212], s[6:7], v[71:72]
	v_add_f64_e32 v[3:4], v[7:8], v[19:20]
	v_add_f64_e64 v[7:8], v[7:8], -v[19:20]
	v_add_f64_e32 v[19:20], v[23:24], v[31:32]
	v_add_f64_e64 v[23:24], v[23:24], -v[31:32]
	v_fma_f64 v[31:32], v[207:208], s[6:7], v[49:50]
	v_fma_f64 v[177:178], v[179:180], s[18:19], v[177:178]
	;; [unrolled: 1-line block ×10, first 2 shown]
	v_mul_f64_e32 v[107:108], s[16:17], v[41:42]
	v_mul_f64_e32 v[115:116], s[0:1], v[43:44]
	v_add_f64_e32 v[1:2], v[5:6], v[17:18]
	v_add_f64_e64 v[5:6], v[5:6], -v[17:18]
	v_add_f64_e32 v[17:18], v[21:22], v[29:30]
	v_add_f64_e64 v[21:22], v[21:22], -v[29:30]
	v_fma_f64 v[29:30], v[75:76], s[6:7], v[119:120]
	v_fma_f64 v[113:114], v[163:164], s[6:7], v[131:132]
	;; [unrolled: 1-line block ×3, first 2 shown]
	v_mul_f64_e32 v[39:40], s[18:19], v[91:92]
	v_mul_f64_e32 v[91:92], s[6:7], v[91:92]
	v_fma_f64 v[103:104], v[163:164], s[6:7], v[103:104]
	v_fma_f64 v[75:76], v[75:76], s[6:7], v[89:90]
	v_mul_f64_e32 v[89:90], s[18:19], v[79:80]
	v_mul_f64_e32 v[79:80], s[12:13], v[79:80]
	v_fma_f64 v[49:50], v[73:74], s[6:7], v[121:122]
	v_fma_f64 v[73:74], v[73:74], s[6:7], v[93:94]
	;; [unrolled: 1-line block ×3, first 2 shown]
	v_mul_f64_e32 v[93:94], s[16:17], v[83:84]
	v_mul_f64_e32 v[83:84], s[10:11], v[83:84]
	;; [unrolled: 1-line block ×4, first 2 shown]
	v_fma_f64 v[169:170], v[81:82], s[0:1], v[169:170]
	v_fma_f64 v[131:132], v[205:206], s[6:7], v[145:146]
	v_mul_f64_e32 v[133:134], s[18:19], v[25:26]
	v_mul_f64_e32 v[25:26], s[6:7], v[25:26]
	v_fma_f64 v[81:82], v[81:82], s[16:17], v[147:148]
	v_fma_f64 v[121:122], v[171:172], s[6:7], v[125:126]
	;; [unrolled: 1-line block ×4, first 2 shown]
	v_mul_f64_e32 v[135:136], s[18:19], v[27:28]
	v_mul_f64_e32 v[27:28], s[12:13], v[27:28]
	v_fma_f64 v[53:54], v[199:200], s[6:7], v[53:54]
	v_fma_f64 v[47:48], v[47:48], s[6:7], v[61:62]
	v_mul_f64_e32 v[61:62], s[16:17], v[31:32]
	v_mul_f64_e32 v[31:32], s[10:11], v[31:32]
	;; [unrolled: 1-line block ×4, first 2 shown]
	v_fma_f64 v[35:36], v[183:184], s[6:7], v[35:36]
	v_mul_f64_e32 v[145:146], s[18:19], v[33:34]
	v_mul_f64_e32 v[33:34], s[6:7], v[33:34]
	v_fma_f64 v[63:64], v[63:64], s[0:1], v[177:178]
	v_fma_f64 v[57:58], v[183:184], s[6:7], v[57:58]
	v_mul_f64_e32 v[147:148], s[18:19], v[67:68]
	v_mul_f64_e32 v[67:68], s[12:13], v[67:68]
	v_fma_f64 v[77:78], v[179:180], s[0:1], v[77:78]
	v_mul_f64_e32 v[149:150], s[16:17], v[59:60]
	v_mul_f64_e32 v[59:60], s[10:11], v[59:60]
	v_fma_f64 v[43:44], v[43:44], s[14:15], v[107:108]
	v_fma_f64 v[41:42], v[41:42], s[14:15], v[115:116]
	;; [unrolled: 1-line block ×41, first 2 shown]
	v_add_f64_e32 v[25:26], v[29:30], v[43:44]
	v_add_f64_e32 v[27:28], v[49:50], v[41:42]
	;; [unrolled: 1-line block ×4, first 2 shown]
	v_add_f64_e64 v[29:30], v[29:30], -v[43:44]
	v_add_f64_e64 v[31:32], v[49:50], -v[41:42]
	v_add_f64_e32 v[41:42], v[119:120], v[55:56]
	v_add_f64_e32 v[43:44], v[99:100], v[79:80]
	;; [unrolled: 1-line block ×4, first 2 shown]
	v_add_f64_e64 v[37:38], v[37:38], -v[39:40]
	v_add_f64_e64 v[39:40], v[97:98], -v[91:92]
	;; [unrolled: 1-line block ×6, first 2 shown]
	v_add_f64_e32 v[57:58], v[121:122], v[85:86]
	v_add_f64_e32 v[59:60], v[125:126], v[95:96]
	;; [unrolled: 1-line block ×6, first 2 shown]
	v_add_f64_e64 v[79:80], v[81:82], -v[135:136]
	v_add_f64_e32 v[81:82], v[87:88], v[151:152]
	v_add_f64_e32 v[83:84], v[89:90], v[153:154]
	v_add_f64_e64 v[61:62], v[121:122], -v[85:86]
	v_add_f64_e64 v[63:64], v[125:126], -v[95:96]
	;; [unrolled: 1-line block ×7, first 2 shown]
	v_add_f64_e32 v[89:90], v[103:104], v[109:110]
	v_add_f64_e32 v[91:92], v[111:112], v[137:138]
	;; [unrolled: 1-line block ×4, first 2 shown]
	v_add_f64_e64 v[93:94], v[103:104], -v[109:110]
	v_add_f64_e64 v[95:96], v[111:112], -v[137:138]
	v_add_f64_e32 v[109:110], v[129:130], v[147:148]
	v_add_f64_e32 v[111:112], v[131:132], v[155:156]
	;; [unrolled: 1-line block ×4, first 2 shown]
	v_add_f64_e64 v[101:102], v[101:102], -v[139:140]
	v_add_f64_e64 v[103:104], v[117:118], -v[145:146]
	v_mul_u32_u24_e32 v227, 10, v105
	v_mul_u32_u24_e32 v229, 5, v214
	v_add_f64_e64 v[117:118], v[129:130], -v[147:148]
	v_add_f64_e64 v[119:120], v[131:132], -v[155:156]
	;; [unrolled: 1-line block ×4, first 2 shown]
	v_or_b32_e32 v213, 0x80, v105
	v_lshl_add_u32 v0, v227, 4, 0
	v_lshlrev_b32_e32 v107, 4, v229
	global_wb scope:SCOPE_SE
	s_wait_storecnt 0x0
	s_barrier_signal -1
	v_mul_lo_u16 v228, 0xcd, v213
	s_barrier_wait -1
	global_inv scope:SCOPE_SE
	ds_store_b128 v0, v[1:4]
	ds_store_b128 v0, v[25:28] offset:16
	ds_store_b128 v0, v[33:36] offset:32
	;; [unrolled: 1-line block ×29, first 2 shown]
	global_wb scope:SCOPE_SE
	s_wait_dscnt 0x0
	s_barrier_signal -1
	s_barrier_wait -1
	global_inv scope:SCOPE_SE
	s_clause 0x1
	global_load_b128 v[41:44], v107, s[4:5]
	global_load_b128 v[37:40], v107, s[4:5] offset:16
	v_lshrrev_b16 v133, 11, v228
	s_clause 0x1
	global_load_b128 v[33:36], v107, s[4:5] offset:32
	global_load_b128 v[45:48], v107, s[4:5] offset:48
	v_or_b32_e32 v124, 0x100, v105
	v_or_b32_e32 v109, 0x180, v105
	v_mul_lo_u16 v0, v133, 10
	v_or_b32_e32 v112, 0x200, v105
	v_and_b32_e32 v227, 0xffff, v215
	v_mul_u32_u24_e32 v1, 0x199a, v124
	v_mul_u32_u24_e32 v2, 0x199a, v109
	v_sub_nc_u16 v0, v213, v0
	v_mul_lo_u16 v140, 0x89, v213
	v_and_b32_e32 v133, 0xffff, v133
	v_lshrrev_b32_e32 v135, 16, v1
	v_lshrrev_b32_e32 v139, 16, v2
	v_and_b32_e32 v130, 0xff, v0
	v_lshrrev_b16 v137, 13, v140
	s_mov_b32 s2, 0xe8584caa
	v_mul_lo_u16 v1, v135, 10
	s_mov_b32 s3, 0xbfebb67a
	v_mul_u32_u24_e32 v0, 5, v130
	s_mov_b32 s1, 0x3febb67a
	s_wait_alu 0xfffe
	s_mov_b32 s0, s2
	v_sub_nc_u16 v1, v124, v1
	v_mul_u32_u24_e32 v136, 0x445, v109
	v_lshlrev_b32_e32 v0, 4, v0
	s_clause 0x3
	global_load_b128 v[61:64], v107, s[4:5] offset:64
	global_load_b128 v[57:60], v0, s[4:5]
	global_load_b128 v[53:56], v0, s[4:5] offset:16
	global_load_b128 v[49:52], v0, s[4:5] offset:32
	v_and_b32_e32 v131, 0xffff, v1
	s_clause 0x1
	global_load_b128 v[73:76], v0, s[4:5] offset:48
	global_load_b128 v[85:88], v0, s[4:5] offset:64
	v_or_b32_e32 v125, 0x280, v105
	v_mul_u32_u24_e32 v129, 0x445, v112
	v_mul_u32_u24_e32 v1, 5, v131
	v_lshlrev_b32_e32 v240, 4, v131
	v_lshrrev_b32_e32 v136, 16, v136
	v_mul_u32_u24_e32 v128, 0x445, v125
	v_or_b32_e32 v126, 0x300, v105
	v_lshlrev_b32_e32 v0, 4, v1
	v_mul_lo_u16 v1, v139, 10
	v_or_b32_e32 v110, 0x400, v105
	v_or_b32_e32 v111, 0x480, v105
	;; [unrolled: 1-line block ×3, first 2 shown]
	global_load_b128 v[81:84], v0, s[4:5]
	v_sub_nc_u16 v1, v109, v1
	s_clause 0x3
	global_load_b128 v[77:80], v0, s[4:5] offset:16
	global_load_b128 v[69:72], v0, s[4:5] offset:32
	;; [unrolled: 1-line block ×4, first 2 shown]
	v_or_b32_e32 v116, 0x580, v105
	v_and_b32_e32 v132, 0xffff, v1
	v_or_b32_e32 v114, 0x600, v105
	v_or_b32_e32 v115, 0x680, v105
	;; [unrolled: 1-line block ×3, first 2 shown]
	v_mul_u32_u24_e32 v127, 0x445, v126
	v_mul_u32_u24_e32 v1, 5, v132
	v_lshlrev_b32_e32 v241, 4, v132
	v_mul_u32_u24_e32 v122, 0x889, v110
	v_mul_u32_u24_e32 v120, 0x889, v111
	v_mul_u32_u24_e32 v119, 0x889, v113
	v_lshlrev_b32_e32 v0, 4, v1
	v_mul_u32_u24_e32 v1, 0x199a, v112
	v_mul_u32_u24_e32 v118, 0x889, v116
	;; [unrolled: 1-line block ×3, first 2 shown]
	s_clause 0x1
	global_load_b128 v[93:96], v0, s[4:5]
	global_load_b128 v[89:92], v0, s[4:5] offset:16
	v_lshrrev_b32_e32 v142, 16, v1
	s_clause 0x1
	global_load_b128 v[9:12], v0, s[4:5] offset:32
	global_load_b128 v[5:8], v0, s[4:5] offset:48
	v_mul_lo_u16 v1, v142, 10
	s_delay_alu instid0(VALU_DEP_1) | instskip(NEXT) | instid1(VALU_DEP_1)
	v_sub_nc_u16 v1, v112, v1
	v_and_b32_e32 v134, 0xffff, v1
	s_delay_alu instid0(VALU_DEP_1) | instskip(SKIP_1) | instid1(VALU_DEP_2)
	v_mul_u32_u24_e32 v1, 5, v134
	v_lshlrev_b32_e32 v242, 4, v134
	v_lshlrev_b32_e32 v29, 4, v1
	s_clause 0x5
	global_load_b128 v[1:4], v0, s[4:5] offset:64
	global_load_b128 v[13:16], v29, s[4:5]
	global_load_b128 v[17:20], v29, s[4:5] offset:16
	global_load_b128 v[25:28], v29, s[4:5] offset:32
	global_load_b128 v[21:24], v29, s[4:5] offset:48
	global_load_b128 v[29:32], v29, s[4:5] offset:64
	ds_load_b128 v[143:146], v106 offset:10240
	ds_load_b128 v[147:150], v106 offset:20480
	;; [unrolled: 1-line block ×12, first 2 shown]
	scratch_load_b32 v243, off, off offset:28 th:TH_LOAD_LU ; 4-byte Folded Reload
	ds_load_b128 v[171:174], v106 offset:28672
	ds_load_b128 v[183:186], v106 offset:49152
	v_mul_lo_u16 v0, 0x89, v105
	s_delay_alu instid0(VALU_DEP_1) | instskip(SKIP_1) | instid1(VALU_DEP_2)
	v_lshrrev_b16 v141, 13, v0
	v_mul_u32_u24_e32 v0, 0x445, v124
	v_mul_lo_u16 v228, v141, 60
	s_delay_alu instid0(VALU_DEP_2)
	v_lshrrev_b32_e32 v138, 16, v0
	v_mul_u32_u24_e32 v0, 0x3c0, v227
	s_wait_loadcnt_dscnt 0x190d
	v_mul_f64_e32 v[107:108], v[145:146], v[43:44]
	v_mul_f64_e32 v[43:44], v[143:144], v[43:44]
	s_wait_loadcnt_dscnt 0x180c
	v_mul_f64_e32 v[195:196], v[149:150], v[39:40]
	v_mul_f64_e32 v[197:198], v[147:148], v[39:40]
	;; [unrolled: 3-line block ×3, first 2 shown]
	v_mul_f64_e32 v[199:200], v[153:154], v[35:36]
	v_mul_f64_e32 v[201:202], v[151:152], v[35:36]
	s_wait_loadcnt_dscnt 0x1508
	v_mul_f64_e32 v[205:206], v[161:162], v[63:64]
	v_mul_f64_e32 v[207:208], v[159:160], v[63:64]
	s_wait_loadcnt_dscnt 0x1407
	;; [unrolled: 3-line block ×3, first 2 shown]
	v_mul_f64_e32 v[215:216], v[169:170], v[55:56]
	v_mul_f64_e32 v[217:218], v[167:168], v[55:56]
	v_mul_u32_u24_e32 v64, 0x889, v114
	v_mul_u32_u24_e32 v63, 0x889, v115
	v_fma_f64 v[107:108], v[143:144], v[41:42], v[107:108]
	v_fma_f64 v[219:220], v[145:146], v[41:42], -v[43:44]
	ds_load_b128 v[39:42], v106 offset:34816
	s_wait_loadcnt_dscnt 0x1206
	v_mul_f64_e32 v[221:222], v[181:182], v[51:52]
	v_mul_f64_e32 v[223:224], v[179:180], v[51:52]
	v_fma_f64 v[195:196], v[147:148], v[37:38], v[195:196]
	v_fma_f64 v[197:198], v[149:150], v[37:38], -v[197:198]
	ds_load_b128 v[35:38], v106 offset:24576
	v_fma_f64 v[155:156], v[155:156], v[45:46], v[203:204]
	v_fma_f64 v[157:158], v[157:158], v[45:46], -v[47:48]
	ds_load_b128 v[43:46], v106 offset:45056
	s_wait_loadcnt_dscnt 0x1107
	v_mul_f64_e32 v[225:226], v[177:178], v[75:76]
	v_mul_f64_e32 v[147:148], v[175:176], v[75:76]
	v_fma_f64 v[199:200], v[151:152], v[33:34], v[199:200]
	v_fma_f64 v[201:202], v[153:154], v[33:34], -v[201:202]
	ds_load_b128 v[143:146], v106 offset:55296
	s_wait_loadcnt_dscnt 0x1006
	v_mul_f64_e32 v[33:34], v[193:194], v[87:88]
	v_mul_f64_e32 v[87:88], v[191:192], v[87:88]
	v_lshrrev_b32_e32 v75, 16, v129
	v_lshrrev_b32_e32 v76, 16, v128
	v_fma_f64 v[159:160], v[159:160], v[61:62], v[205:206]
	v_fma_f64 v[161:162], v[161:162], v[61:62], -v[207:208]
	ds_load_b128 v[59:62], v106 offset:16384
	s_wait_loadcnt 0xf
	v_mul_f64_e32 v[149:150], v[189:190], v[83:84]
	v_mul_f64_e32 v[151:152], v[187:188], v[83:84]
	s_wait_loadcnt_dscnt 0xd04
	v_mul_f64_e32 v[205:206], v[41:42], v[71:72]
	v_fma_f64 v[163:164], v[163:164], v[57:58], v[209:210]
	v_fma_f64 v[165:166], v[165:166], v[57:58], -v[211:212]
	v_mul_f64_e32 v[207:208], v[39:40], v[71:72]
	s_wait_loadcnt_dscnt 0xc02
	v_mul_f64_e32 v[209:210], v[45:46], v[67:68]
	v_mul_f64_e32 v[211:212], v[43:44], v[67:68]
	v_fma_f64 v[179:180], v[179:180], v[49:50], v[221:222]
	v_fma_f64 v[181:182], v[181:182], v[49:50], -v[223:224]
	ds_load_b128 v[47:50], v106 offset:18432
	v_mul_f64_e32 v[153:154], v[37:38], v[79:80]
	v_mul_f64_e32 v[203:204], v[35:36], v[79:80]
	v_fma_f64 v[167:168], v[167:168], v[53:54], v[215:216]
	s_wait_loadcnt_dscnt 0xb02
	v_mul_f64_e32 v[215:216], v[145:146], v[99:100]
	v_mul_f64_e32 v[99:100], v[143:144], v[99:100]
	v_fma_f64 v[175:176], v[175:176], v[73:74], v[225:226]
	v_fma_f64 v[73:74], v[177:178], v[73:74], -v[147:148]
	ds_load_b128 v[55:58], v106 offset:26624
	s_wait_loadcnt_dscnt 0xa02
	v_mul_f64_e32 v[177:178], v[61:62], v[95:96]
	v_mul_f64_e32 v[95:96], v[59:60], v[95:96]
	v_fma_f64 v[191:192], v[191:192], v[85:86], v[33:34]
	v_fma_f64 v[193:194], v[193:194], v[85:86], -v[87:88]
	ds_load_b128 v[85:88], v106 offset:36864
	v_fma_f64 v[169:170], v[169:170], v[53:54], -v[217:218]
	ds_load_b128 v[51:54], v106 offset:47104
	v_mul_u32_u24_e32 v33, 0x3c0, v135
	v_mul_u32_u24_e32 v34, 0x3c0, v139
	v_sub_nc_u16 v135, v105, v228
	v_mul_lo_u16 v139, v137, 60
	s_wait_loadcnt_dscnt 0x503
	v_mul_f64_e32 v[223:224], v[49:50], v[15:16]
	v_mul_f64_e32 v[15:16], v[47:48], v[15:16]
	v_lshrrev_b32_e32 v83, 16, v127
	v_lshrrev_b32_e32 v80, 17, v122
	;; [unrolled: 1-line block ×6, first 2 shown]
	v_fma_f64 v[187:188], v[187:188], v[81:82], v[149:150]
	ds_load_b128 v[147:150], v106 offset:57344
	v_fma_f64 v[189:190], v[189:190], v[81:82], -v[151:152]
	s_wait_dscnt 0x3
	v_mul_f64_e32 v[81:82], v[57:58], v[91:92]
	v_mul_f64_e32 v[91:92], v[55:56], v[91:92]
	s_wait_loadcnt 0x0
	v_mul_u32_u24_e32 v123, 0x445, v243
	v_lshrrev_b32_e32 v72, 17, v63
	s_delay_alu instid0(VALU_DEP_2)
	v_lshrrev_b32_e32 v79, 16, v123
	v_fma_f64 v[217:218], v[35:36], v[77:78], v[153:154]
	v_fma_f64 v[77:78], v[37:38], v[77:78], -v[203:204]
	ds_load_b128 v[151:154], v106 offset:38912
	v_fma_f64 v[203:204], v[39:40], v[69:70], v[205:206]
	ds_load_b128 v[36:39], v106 offset:59392
	v_fma_f64 v[69:70], v[41:42], v[69:70], -v[207:208]
	s_wait_dscnt 0x4
	v_mul_f64_e32 v[40:41], v[87:88], v[11:12]
	v_mul_f64_e32 v[11:12], v[85:86], v[11:12]
	v_fma_f64 v[207:208], v[43:44], v[65:66], v[209:210]
	v_fma_f64 v[44:45], v[45:46], v[65:66], -v[211:212]
	s_wait_dscnt 0x2
	v_mul_f64_e32 v[211:212], v[147:148], v[3:4]
	v_mul_u32_u24_e32 v35, 0x3c0, v142
	v_fma_f64 v[142:143], v[143:144], v[97:98], v[215:216]
	v_fma_f64 v[97:98], v[145:146], v[97:98], -v[99:100]
	v_mul_f64_e32 v[99:100], v[173:174], v[19:20]
	v_mul_f64_e32 v[19:20], v[171:172], v[19:20]
	v_fma_f64 v[61:62], v[61:62], v[93:94], -v[95:96]
	v_fma_f64 v[59:60], v[59:60], v[93:94], v[177:178]
	v_mul_f64_e32 v[93:94], v[185:186], v[23:24]
	v_mul_f64_e32 v[23:24], v[183:184], v[23:24]
	;; [unrolled: 1-line block ×3, first 2 shown]
	v_mul_lo_u16 v3, v138, 60
	s_wait_dscnt 0x1
	v_mul_f64_e32 v[144:145], v[153:154], v[27:28]
	v_mul_f64_e32 v[27:28], v[151:152], v[27:28]
	s_wait_dscnt 0x0
	v_mul_f64_e32 v[95:96], v[36:37], v[31:32]
	v_mul_f64_e32 v[31:32], v[38:39], v[31:32]
	;; [unrolled: 1-line block ×4, first 2 shown]
	v_and_b32_e32 v4, 0xff, v135
	v_sub_nc_u16 v8, v213, v139
	v_fma_f64 v[177:178], v[55:56], v[89:90], v[81:82]
	v_fma_f64 v[89:90], v[57:58], v[89:90], -v[91:92]
	v_sub_nc_u16 v42, v124, v3
	v_lshlrev_b32_e32 v43, 4, v214
	v_fma_f64 v[46:47], v[47:48], v[13:14], v[223:224]
	v_lshlrev_b32_e32 v65, 4, v4
	v_and_b32_e32 v4, 0xff, v8
	v_and_b32_e32 v66, 0xffff, v42
	v_add3_u32 v81, 0, v0, v43
	v_add_f64_e32 v[134:135], v[201:202], v[161:162]
	v_mul_u32_u24_e32 v3, 0x3c0, v133
	v_add_f64_e32 v[132:133], v[219:220], v[201:202]
	v_lshlrev_b32_e32 v139, 4, v130
	v_lshlrev_b32_e32 v82, 4, v4
	v_fma_f64 v[85:86], v[85:86], v[9:10], v[40:41]
	v_fma_f64 v[87:88], v[87:88], v[9:10], -v[11:12]
	v_fma_f64 v[12:13], v[49:50], v[13:14], -v[15:16]
	v_add_f64_e32 v[48:49], v[195:196], v[155:156]
	v_fma_f64 v[91:92], v[149:150], v[1:2], -v[211:212]
	ds_load_b128 v[8:11], v106
	ds_load_b128 v[40:43], v106 offset:2048
	v_add_f64_e32 v[223:224], v[189:190], v[69:70]
	v_mul_lo_u16 v7, v136, 60
	v_fma_f64 v[14:15], v[171:172], v[17:18], v[99:100]
	v_fma_f64 v[16:17], v[173:174], v[17:18], -v[19:20]
	v_add_f64_e32 v[99:100], v[107:108], v[199:200]
	v_add_f64_e64 v[173:174], v[201:202], -v[161:162]
	v_fma_f64 v[0:1], v[147:148], v[1:2], v[221:222]
	v_add_f64_e64 v[146:147], v[199:200], -v[159:160]
	v_fma_f64 v[18:19], v[151:152], v[25:26], v[144:145]
	v_fma_f64 v[25:26], v[153:154], v[25:26], -v[27:28]
	v_fma_f64 v[38:39], v[38:39], v[29:30], -v[95:96]
	v_fma_f64 v[27:28], v[183:184], v[21:22], v[93:94]
	v_fma_f64 v[20:21], v[185:186], v[21:22], -v[23:24]
	v_add_f64_e32 v[95:96], v[169:170], v[73:74]
	v_fma_f64 v[29:30], v[36:37], v[29:30], v[31:32]
	v_add_f64_e32 v[185:186], v[181:182], v[193:194]
	s_wait_dscnt 0x1
	v_add_f64_e32 v[31:32], v[8:9], v[195:196]
	v_add_f64_e32 v[36:37], v[10:11], v[197:198]
	;; [unrolled: 1-line block ×4, first 2 shown]
	v_fma_f64 v[130:131], v[51:52], v[5:6], v[205:206]
	v_fma_f64 v[4:5], v[53:54], v[5:6], -v[209:210]
	v_add_f64_e32 v[22:23], v[167:168], v[175:176]
	v_add_f64_e32 v[93:94], v[197:198], v[157:158]
	s_wait_dscnt 0x0
	v_add_f64_e32 v[150:151], v[40:41], v[167:168]
	ds_load_b128 v[51:54], v106 offset:4096
	ds_load_b128 v[55:58], v106 offset:6144
	v_add_f64_e64 v[152:153], v[195:196], -v[155:156]
	v_add_f64_e32 v[171:172], v[42:43], v[169:170]
	v_add_f64_e32 v[183:184], v[163:164], v[179:180]
	v_add_f64_e32 v[195:196], v[165:166], v[181:182]
	v_fma_f64 v[134:135], v[134:135], -0.5, v[219:220]
	v_add_f64_e64 v[148:149], v[197:198], -v[157:158]
	v_add_f64_e32 v[197:198], v[179:180], v[191:192]
	v_fma_f64 v[48:49], v[48:49], -0.5, v[8:9]
	v_add_f64_e32 v[201:202], v[87:88], v[91:92]
	v_add_f64_e64 v[179:180], v[179:180], -v[191:192]
	v_add_f64_e32 v[221:222], v[187:188], v[203:204]
	v_add_f64_e32 v[132:133], v[132:133], v[161:162]
	;; [unrolled: 1-line block ×6, first 2 shown]
	v_add_f64_e64 v[167:168], v[167:168], -v[175:176]
	v_add_f64_e64 v[169:170], v[169:170], -v[73:74]
	s_wait_dscnt 0x1
	v_add_f64_e32 v[211:212], v[51:52], v[217:218]
	v_add_f64_e32 v[214:215], v[53:54], v[77:78]
	;; [unrolled: 1-line block ×3, first 2 shown]
	s_wait_dscnt 0x0
	v_add_f64_e32 v[229:230], v[55:56], v[177:178]
	v_add_f64_e32 v[8:9], v[25:26], v[38:39]
	v_add_f64_e64 v[238:239], v[25:26], -v[38:39]
	v_add_f64_e64 v[181:182], v[181:182], -v[193:194]
	v_fma_f64 v[42:43], v[95:96], -0.5, v[42:43]
	v_add_f64_e32 v[95:96], v[61:62], v[87:88]
	v_fma_f64 v[165:166], v[185:186], -0.5, v[165:166]
	v_add_f64_e32 v[31:32], v[31:32], v[155:156]
	v_add_f64_e32 v[154:155], v[14:15], v[27:28]
	;; [unrolled: 1-line block ×4, first 2 shown]
	v_fma_f64 v[107:108], v[144:145], -0.5, v[107:108]
	v_add_f64_e32 v[144:145], v[12:13], v[25:26]
	v_add_f64_e32 v[185:186], v[203:204], v[142:143]
	v_add_f64_e64 v[203:204], v[203:204], -v[142:143]
	v_fma_f64 v[189:190], v[199:200], -0.5, v[189:190]
	v_add_f64_e32 v[158:159], v[103:104], v[16:17]
	v_add_f64_e32 v[225:226], v[177:178], v[130:131]
	;; [unrolled: 1-line block ×3, first 2 shown]
	v_fma_f64 v[40:41], v[22:23], -0.5, v[40:41]
	v_add_f64_e32 v[22:23], v[59:60], v[85:86]
	v_add_f64_e32 v[199:200], v[85:86], v[0:1]
	v_add_f64_e64 v[85:86], v[85:86], -v[0:1]
	v_fma_f64 v[93:94], v[93:94], -0.5, v[10:11]
	v_add_f64_e32 v[10:11], v[57:58], v[89:90]
	v_fma_f64 v[61:62], v[201:202], -0.5, v[61:62]
	v_add_f64_e32 v[201:202], v[18:19], v[29:30]
	v_add_f64_e64 v[232:233], v[18:19], -v[29:30]
	v_add_f64_e32 v[24:25], v[150:151], v[175:176]
	v_add_f64_e32 v[73:74], v[171:172], v[73:74]
	;; [unrolled: 1-line block ×4, first 2 shown]
	s_wait_alu 0xfffe
	v_fma_f64 v[191:192], v[146:147], s[0:1], v[134:135]
	v_fma_f64 v[134:135], v[146:147], s[2:3], v[134:135]
	v_add_f64_e64 v[87:88], v[87:88], -v[91:92]
	v_fma_f64 v[162:163], v[197:198], -0.5, v[163:164]
	v_add_f64_e64 v[236:237], v[14:15], -v[27:28]
	v_add_f64_e32 v[146:147], v[219:220], v[27:28]
	v_add_f64_e64 v[69:70], v[69:70], -v[97:98]
	v_fma_f64 v[175:176], v[8:9], -0.5, v[12:13]
	v_fma_f64 v[50:51], v[205:206], -0.5, v[51:52]
	;; [unrolled: 1-line block ×3, first 2 shown]
	v_add_f64_e32 v[183:184], v[211:212], v[207:208]
	v_add_f64_e32 v[91:92], v[95:96], v[91:92]
	v_fma_f64 v[26:27], v[179:180], s[2:3], v[165:166]
	v_add_f64_e32 v[142:143], v[221:222], v[142:143]
	v_fma_f64 v[95:96], v[154:155], -0.5, v[101:102]
	v_fma_f64 v[101:102], v[179:180], s[0:1], v[165:166]
	v_fma_f64 v[103:104], v[156:157], -0.5, v[103:104]
	v_add_f64_e32 v[156:157], v[160:161], v[29:30]
	v_add_f64_e32 v[144:145], v[144:145], v[38:39]
	v_fma_f64 v[28:29], v[185:186], -0.5, v[187:188]
	v_add_f64_e32 v[8:9], v[31:32], v[99:100]
	v_fma_f64 v[38:39], v[203:204], s[0:1], v[189:190]
	v_add_f64_e32 v[154:155], v[158:159], v[20:21]
	v_fma_f64 v[158:159], v[203:204], s[2:3], v[189:190]
	v_fma_f64 v[54:55], v[225:226], -0.5, v[55:56]
	v_fma_f64 v[56:57], v[227:228], -0.5, v[57:58]
	v_add_f64_e64 v[12:13], v[31:32], -v[99:100]
	v_fma_f64 v[58:59], v[199:200], -0.5, v[59:60]
	v_add_f64_e64 v[77:78], v[77:78], -v[44:45]
	v_add_f64_e64 v[89:90], v[89:90], -v[4:5]
	v_add_f64_e32 v[44:45], v[214:215], v[44:45]
	v_fma_f64 v[30:31], v[85:86], s[0:1], v[61:62]
	v_add_f64_e32 v[97:98], v[223:224], v[97:98]
	v_add_f64_e32 v[4:5], v[10:11], v[4:5]
	;; [unrolled: 1-line block ×3, first 2 shown]
	v_add_f64_e64 v[14:15], v[36:37], -v[132:133]
	v_fma_f64 v[36:37], v[85:86], s[2:3], v[61:62]
	v_fma_f64 v[46:47], v[201:202], -0.5, v[46:47]
	v_fma_f64 v[99:100], v[173:174], s[2:3], v[107:108]
	v_fma_f64 v[132:133], v[148:149], s[2:3], v[48:49]
	;; [unrolled: 1-line block ×4, first 2 shown]
	v_add_f64_e32 v[0:1], v[22:23], v[0:1]
	v_add_f64_e32 v[18:19], v[73:74], v[171:172]
	v_add_f64_e64 v[22:23], v[73:74], -v[171:172]
	v_fma_f64 v[85:86], v[232:233], s[0:1], v[175:176]
	v_fma_f64 v[107:108], v[232:233], s[2:3], v[175:176]
	v_mul_f64_e32 v[73:74], s[2:3], v[191:192]
	v_mul_f64_e32 v[148:149], 0.5, v[191:192]
	v_add_f64_e64 v[177:178], v[177:178], -v[130:131]
	v_add_f64_e32 v[130:131], v[229:230], v[130:131]
	v_mul_f64_e32 v[164:165], s[2:3], v[134:135]
	v_mul_f64_e32 v[134:135], -0.5, v[134:135]
	v_add_f64_e64 v[234:235], v[16:17], -v[20:21]
	v_add_f64_e32 v[16:17], v[24:25], v[150:151]
	v_add_f64_e64 v[20:21], v[24:25], -v[150:151]
	v_fma_f64 v[150:151], v[181:182], s[2:3], v[162:163]
	v_mul_f64_e32 v[173:174], s[2:3], v[101:102]
	v_mul_f64_e32 v[101:102], 0.5, v[101:102]
	v_fma_f64 v[162:163], v[181:182], s[0:1], v[162:163]
	v_mul_f64_e32 v[175:176], s[2:3], v[26:27]
	v_mul_f64_e32 v[179:180], -0.5, v[26:27]
	v_add_f64_e64 v[216:217], v[217:218], -v[207:208]
	v_fma_f64 v[181:182], v[69:70], s[2:3], v[28:29]
	v_mul_f64_e32 v[185:186], s[2:3], v[38:39]
	v_mul_f64_e32 v[187:188], 0.5, v[38:39]
	v_fma_f64 v[69:70], v[69:70], s[0:1], v[28:29]
	v_mul_f64_e32 v[189:190], s[2:3], v[158:159]
	v_mul_f64_e32 v[158:159], -0.5, v[158:159]
	v_add_f64_e32 v[24:25], v[183:184], v[142:143]
	v_add_f64_e64 v[28:29], v[183:184], -v[142:143]
	v_fma_f64 v[142:143], v[87:88], s[2:3], v[58:59]
	v_mul_f64_e32 v[183:184], s[2:3], v[30:31]
	v_mul_f64_e32 v[191:192], 0.5, v[30:31]
	v_add_f64_e32 v[26:27], v[44:45], v[97:98]
	v_add_f64_e64 v[30:31], v[44:45], -v[97:98]
	v_fma_f64 v[58:59], v[87:88], s[0:1], v[58:59]
	v_mul_f64_e32 v[87:88], s[2:3], v[36:37]
	v_mul_f64_e32 v[97:98], -0.5, v[36:37]
	v_fma_f64 v[193:194], v[238:239], s[2:3], v[46:47]
	v_fma_f64 v[197:198], v[238:239], s[0:1], v[46:47]
	;; [unrolled: 1-line block ×4, first 2 shown]
	v_mul_f64_e32 v[195:196], s[2:3], v[85:86]
	v_mul_f64_e32 v[85:86], 0.5, v[85:86]
	v_mul_f64_e32 v[199:200], s[2:3], v[107:108]
	v_mul_f64_e32 v[107:108], -0.5, v[107:108]
	v_fma_f64 v[73:74], v[99:100], 0.5, v[73:74]
	v_fma_f64 v[99:100], v[99:100], s[0:1], v[148:149]
	v_fma_f64 v[152:153], v[169:170], s[2:3], v[40:41]
	;; [unrolled: 1-line block ×5, first 2 shown]
	v_add_f64_e32 v[36:37], v[130:131], v[0:1]
	v_add_f64_e32 v[38:39], v[4:5], v[91:92]
	v_add_f64_e64 v[40:41], v[130:131], -v[0:1]
	v_add_f64_e64 v[42:43], v[4:5], -v[91:92]
	v_fma_f64 v[0:1], v[48:49], -0.5, v[164:165]
	v_fma_f64 v[4:5], v[48:49], s[0:1], v[134:135]
	v_fma_f64 v[130:131], v[150:151], 0.5, v[173:174]
	v_fma_f64 v[101:102], v[150:151], s[0:1], v[101:102]
	v_add_f64_e32 v[44:45], v[146:147], v[156:157]
	v_add_f64_e64 v[48:49], v[146:147], -v[156:157]
	v_fma_f64 v[146:147], v[162:163], -0.5, v[175:176]
	v_fma_f64 v[148:149], v[162:163], s[0:1], v[179:180]
	v_fma_f64 v[134:135], v[77:78], s[2:3], v[50:51]
	v_fma_f64 v[150:151], v[216:217], s[0:1], v[52:53]
	v_fma_f64 v[156:157], v[181:182], 0.5, v[185:186]
	v_fma_f64 v[162:163], v[181:182], s[0:1], v[187:188]
	v_fma_f64 v[77:78], v[77:78], s[0:1], v[50:51]
	v_fma_f64 v[164:165], v[216:217], s[2:3], v[52:53]
	v_fma_f64 v[175:176], v[69:70], -0.5, v[189:190]
	v_fma_f64 v[69:70], v[69:70], s[0:1], v[158:159]
	v_fma_f64 v[173:174], v[89:90], s[2:3], v[54:55]
	v_fma_f64 v[179:180], v[177:178], s[0:1], v[56:57]
	v_fma_f64 v[183:184], v[142:143], 0.5, v[183:184]
	v_fma_f64 v[185:186], v[142:143], s[0:1], v[191:192]
	v_fma_f64 v[181:182], v[89:90], s[0:1], v[54:55]
	v_fma_f64 v[177:178], v[177:178], s[2:3], v[56:57]
	;; [unrolled: 8-line block ×3, first 2 shown]
	v_fma_f64 v[199:200], v[197:198], -0.5, v[199:200]
	v_fma_f64 v[107:108], v[197:198], s[0:1], v[107:108]
	v_add_f64_e32 v[52:53], v[132:133], v[73:74]
	v_add_f64_e32 v[54:55], v[160:161], v[99:100]
	v_add_f64_e64 v[56:57], v[132:133], -v[73:74]
	v_add_f64_e64 v[58:59], v[160:161], -v[99:100]
	v_add_f64_e32 v[46:47], v[154:155], v[144:145]
	v_add_f64_e64 v[50:51], v[154:155], -v[144:145]
	v_add_f64_e32 v[85:86], v[60:61], v[0:1]
	v_add_f64_e32 v[87:88], v[93:94], v[4:5]
	v_add_f64_e64 v[89:90], v[60:61], -v[0:1]
	v_add_f64_e64 v[91:92], v[93:94], -v[4:5]
	v_add_f64_e32 v[93:94], v[152:153], v[130:131]
	v_add_f64_e32 v[95:96], v[171:172], v[101:102]
	v_add_f64_e64 v[99:100], v[171:172], -v[101:102]
	v_add_f64_e32 v[101:102], v[169:170], v[146:147]
	v_add_f64_e32 v[103:104], v[166:167], v[148:149]
	v_add_f64_e64 v[97:98], v[152:153], -v[130:131]
	v_add_f64_e64 v[130:131], v[169:170], -v[146:147]
	;; [unrolled: 1-line block ×3, first 2 shown]
	v_add_f64_e32 v[142:143], v[134:135], v[156:157]
	v_add_f64_e32 v[144:145], v[150:151], v[162:163]
	v_add_f64_e64 v[148:149], v[150:151], -v[162:163]
	v_add_f64_e32 v[150:151], v[77:78], v[175:176]
	v_add_f64_e32 v[152:153], v[164:165], v[69:70]
	v_add_f64_e64 v[146:147], v[134:135], -v[156:157]
	v_add_f64_e64 v[154:155], v[77:78], -v[175:176]
	;; [unrolled: 1-line block ×3, first 2 shown]
	v_add_f64_e32 v[158:159], v[173:174], v[183:184]
	v_add_f64_e32 v[160:161], v[179:180], v[185:186]
	;; [unrolled: 1-line block ×4, first 2 shown]
	v_add_f64_e64 v[162:163], v[173:174], -v[183:184]
	v_add_f64_e64 v[164:165], v[179:180], -v[185:186]
	;; [unrolled: 1-line block ×4, first 2 shown]
	v_add_f64_e32 v[174:175], v[187:188], v[195:196]
	v_add_f64_e32 v[176:177], v[201:202], v[193:194]
	;; [unrolled: 1-line block ×4, first 2 shown]
	v_add_f64_e64 v[178:179], v[187:188], -v[195:196]
	v_add_f64_e64 v[180:181], v[201:202], -v[193:194]
	;; [unrolled: 1-line block ×4, first 2 shown]
	v_add3_u32 v0, 0, v3, v139
	v_add3_u32 v1, 0, v33, v240
	;; [unrolled: 1-line block ×4, first 2 shown]
	global_wb scope:SCOPE_SE
	s_barrier_signal -1
	s_barrier_wait -1
	global_inv scope:SCOPE_SE
	ds_store_b128 v81, v[8:11]
	ds_store_b128 v81, v[52:55] offset:160
	ds_store_b128 v81, v[12:15] offset:480
	ds_store_b128 v81, v[85:88] offset:320
	ds_store_b128 v81, v[56:59] offset:640
	ds_store_b128 v81, v[89:92] offset:800
	ds_store_b128 v0, v[16:19]
	ds_store_b128 v0, v[93:96] offset:160
	ds_store_b128 v0, v[101:104] offset:320
	ds_store_b128 v0, v[20:23] offset:480
	ds_store_b128 v0, v[97:100] offset:640
	ds_store_b128 v0, v[130:133] offset:800
	;; [unrolled: 6-line block ×5, first 2 shown]
	v_sub_nc_u16 v0, v109, v7
	v_mul_lo_u16 v9, v75, 60
	v_mul_lo_u16 v14, v76, 60
	global_wb scope:SCOPE_SE
	s_wait_dscnt 0x0
	s_barrier_signal -1
	v_and_b32_e32 v0, 0xffff, v0
	v_sub_nc_u16 v13, v112, v9
	s_barrier_wait -1
	global_inv scope:SCOPE_SE
	s_clause 0x1
	global_load_b128 v[1:4], v65, s[4:5] offset:800
	global_load_b128 v[5:8], v82, s[4:5] offset:800
	v_lshlrev_b32_e32 v95, 4, v0
	v_and_b32_e32 v0, 0xffff, v13
	v_sub_nc_u16 v17, v125, v14
	v_lshlrev_b32_e32 v94, 4, v66
	v_lshrrev_b32_e32 v132, 17, v121
	v_mul_lo_u16 v21, v83, 60
	v_lshlrev_b32_e32 v96, 4, v0
	v_and_b32_e32 v0, 0xffff, v17
	s_clause 0x1
	global_load_b128 v[9:12], v94, s[4:5] offset:800
	global_load_b128 v[13:16], v95, s[4:5] offset:800
	v_mul_lo_u16 v25, v79, 60
	v_mul_lo_u16 v26, v80, 60
	;; [unrolled: 1-line block ×5, first 2 shown]
	v_lshlrev_b32_e32 v97, 4, v0
	v_mul_lo_u16 v0, v71, 60
	v_mul_lo_u16 v30, v72, 60
	;; [unrolled: 1-line block ×3, first 2 shown]
	global_load_b128 v[17:20], v96, s[4:5] offset:800
	v_sub_nc_u16 v32, v126, v21
	global_load_b128 v[21:24], v97, s[4:5] offset:800
	v_sub_nc_u16 v25, v243, v25
	v_sub_nc_u16 v26, v110, v26
	;; [unrolled: 1-line block ×8, first 2 shown]
	v_and_b32_e32 v29, 0xffff, v32
	v_and_b32_e32 v25, 0xffff, v25
	;; [unrolled: 1-line block ×9, first 2 shown]
	v_lshlrev_b32_e32 v103, 4, v29
	v_lshlrev_b32_e32 v104, 4, v25
	;; [unrolled: 1-line block ×9, first 2 shown]
	s_clause 0x8
	global_load_b128 v[29:32], v103, s[4:5] offset:800
	global_load_b128 v[25:28], v104, s[4:5] offset:800
	global_load_b128 v[37:40], v130, s[4:5] offset:800
	global_load_b128 v[33:36], v131, s[4:5] offset:800
	global_load_b128 v[45:48], v98, s[4:5] offset:800
	global_load_b128 v[49:52], v99, s[4:5] offset:800
	global_load_b128 v[53:56], v100, s[4:5] offset:800
	global_load_b128 v[57:60], v101, s[4:5] offset:800
	global_load_b128 v[41:44], v102, s[4:5] offset:800
	scratch_load_b32 v227, off, off offset:24 th:TH_LOAD_LU ; 4-byte Folded Reload
	v_and_b32_e32 v107, 0xffff, v141
	v_lshrrev_b16 v66, 14, v140
	ds_load_b128 v[139:142], v106 offset:30720
	ds_load_b128 v[175:178], v106 offset:49152
	;; [unrolled: 1-line block ×4, first 2 shown]
	v_mul_u32_u24_e32 v200, 0x780, v136
	ds_load_b128 v[133:136], v106 offset:36864
	ds_load_b128 v[155:158], v106 offset:38912
	v_mul_u32_u24_e32 v201, 0x780, v75
	v_mul_u32_u24_e32 v202, 0x780, v76
	ds_load_b128 v[159:162], v106 offset:40960
	ds_load_b128 v[163:166], v106 offset:43008
	v_mul_u32_u24_e32 v204, 0x780, v79
	v_mul_u32_u24_e32 v205, 0x780, v80
	;; [unrolled: 1-line block ×4, first 2 shown]
	v_add_nc_u32_e32 v0, 0xffffff88, v105
	v_cmp_gt_u32_e64 s0, 0x78, v105
	v_mul_u32_u24_e32 v209, 0x780, v71
	v_mul_u32_u24_e32 v210, 0x780, v72
	v_mul_u32_u24_e32 v203, 0x780, v83
	v_mul_u32_u24_e32 v206, 0x780, v84
	s_wait_alu 0xf1ff
	v_cndmask_b32_e64 v73, v0, v105, s0
	v_mul_u32_u24_e32 v0, 0x223, v124
	ds_load_b128 v[167:170], v106 offset:45056
	ds_load_b128 v[171:174], v106 offset:47104
	v_and_b32_e32 v195, 0xffff, v137
	v_mul_u32_u24_e32 v199, 0x780, v138
	v_lshrrev_b32_e32 v69, 16, v0
	v_mul_u32_u24_e32 v0, 0x780, v107
	v_mul_u32_u24_e32 v211, 0x780, v132
	v_mul_lo_u16 v196, 0x78, v66
	v_mul_u32_u24_e32 v93, 0x223, v109
	v_mul_lo_u16 v197, 0x78, v69
	v_add3_u32 v0, 0, v0, v65
	v_mov_b32_e32 v74, 0
	v_lshrrev_b32_e32 v77, 17, v129
	v_lshrrev_b32_e32 v70, 16, v93
	v_sub_nc_u16 v124, v124, v197
	v_lshrrev_b32_e32 v78, 17, v128
	v_lshlrev_b64_e32 v[61:62], 4, v[73:74]
	v_lshrrev_b32_e32 v81, 17, v127
	v_mul_lo_u16 v198, 0x78, v70
	v_mul_lo_u16 v212, 0x78, v77
	v_lshrrev_b32_e32 v85, 17, v123
	v_mul_lo_u16 v214, 0x78, v78
	v_add_co_u32 v61, s0, s4, v61
	v_sub_nc_u16 v224, v109, v198
	s_wait_alu 0xf1ff
	v_add_co_ci_u32_e64 v62, s0, s5, v62, s0
	v_lshrrev_b32_e32 v86, 18, v122
	v_mul_lo_u16 v215, 0x78, v81
	v_lshrrev_b32_e32 v87, 18, v120
	v_sub_nc_u16 v212, v112, v212
	v_mov_b32_e32 v226, v243
	v_mul_lo_u16 v216, 0x78, v85
	v_lshrrev_b32_e32 v88, 18, v119
	v_mul_lo_u16 v217, 0x78, v86
	v_lshrrev_b32_e32 v89, 18, v118
	v_mul_lo_u16 v218, 0x78, v87
	v_lshrrev_b32_e32 v90, 18, v64
	v_mul_lo_u16 v219, 0x78, v88
	v_lshrrev_b32_e32 v91, 18, v63
	v_mul_lo_u16 v220, 0x78, v89
	v_lshrrev_b32_e32 v92, 18, v121
	v_mul_lo_u16 v221, 0x78, v90
	v_cmp_lt_u32_e64 s0, 0x77, v105
	v_mul_lo_u16 v222, 0x78, v91
	v_and_b32_e32 v66, 0xffff, v66
	v_mul_lo_u16 v223, 0x78, v92
	v_mul_u32_u24_e32 v81, 0xf00, v81
	s_delay_alu instid0(VALU_DEP_3)
	v_mul_u32_u24_e32 v66, 0xf00, v66
	s_wait_loadcnt_dscnt 0xf09
	v_mul_f64_e32 v[75:76], v[141:142], v[3:4]
	v_mul_f64_e32 v[3:4], v[139:140], v[3:4]
	s_wait_loadcnt_dscnt 0xe07
	v_mul_f64_e32 v[79:80], v[145:146], v[7:8]
	v_mul_f64_e32 v[7:8], v[143:144], v[7:8]
	;; [unrolled: 3-line block ×6, first 2 shown]
	v_fma_f64 v[75:76], v[139:140], v[1:2], v[75:76]
	v_fma_f64 v[141:142], v[141:142], v[1:2], -v[3:4]
	v_fma_f64 v[79:80], v[143:144], v[5:6], v[79:80]
	v_fma_f64 v[143:144], v[145:146], v[5:6], -v[7:8]
	;; [unrolled: 2-line block ×3, first 2 shown]
	s_wait_loadcnt_dscnt 0x902
	v_mul_f64_e32 v[5:6], v[165:166], v[31:32]
	v_mul_f64_e32 v[7:8], v[163:164], v[31:32]
	s_wait_loadcnt_dscnt 0x801
	v_mul_f64_e32 v[31:32], v[169:170], v[27:28]
	v_mul_f64_e32 v[27:28], v[167:168], v[27:28]
	;; [unrolled: 3-line block ×3, first 2 shown]
	s_wait_loadcnt 0x6
	v_mul_f64_e32 v[149:150], v[177:178], v[35:36]
	v_mul_f64_e32 v[35:36], v[175:176], v[35:36]
	s_wait_loadcnt 0x0
	ds_load_b128 v[151:154], v227
	ds_load_b128 v[179:182], v106 offset:51200
	ds_load_b128 v[183:186], v106 offset:53248
	ds_load_b128 v[187:190], v106 offset:55296
	ds_load_b128 v[1:4], v106 offset:57344
	ds_load_b128 v[137:140], v106 offset:59392
	v_fma_f64 v[71:72], v[133:134], v[13:14], v[71:72]
	v_fma_f64 v[191:192], v[135:136], v[13:14], -v[15:16]
	v_fma_f64 v[83:84], v[155:156], v[17:18], v[83:84]
	v_fma_f64 v[155:156], v[157:158], v[17:18], -v[19:20]
	;; [unrolled: 2-line block ×3, first 2 shown]
	v_sub_nc_u16 v9, v213, v196
	v_mul_u32_u24_e32 v10, 0x780, v195
	s_delay_alu instid0(VALU_DEP_2) | instskip(NEXT) | instid1(VALU_DEP_2)
	v_and_b32_e32 v225, 0xff, v9
	v_add3_u32 v65, 0, v10, v82
	v_add3_u32 v82, 0, v207, v98
	;; [unrolled: 1-line block ×3, first 2 shown]
	v_mul_u32_u24_e32 v207, 0xf00, v86
	s_wait_dscnt 0x4
	v_mul_f64_e32 v[132:133], v[181:182], v[47:48]
	v_mul_f64_e32 v[47:48], v[179:180], v[47:48]
	s_wait_dscnt 0x3
	v_mul_f64_e32 v[134:135], v[185:186], v[51:52]
	v_mul_f64_e32 v[51:52], v[183:184], v[51:52]
	;; [unrolled: 3-line block ×5, first 2 shown]
	v_lshlrev_b32_e32 v101, 4, v73
	v_fma_f64 v[163:164], v[163:164], v[29:30], v[5:6]
	v_fma_f64 v[165:166], v[165:166], v[29:30], -v[7:8]
	v_fma_f64 v[167:168], v[167:168], v[25:26], v[31:32]
	v_fma_f64 v[169:170], v[169:170], v[25:26], -v[27:28]
	;; [unrolled: 2-line block ×4, first 2 shown]
	ds_load_b128 v[5:8], v106
	ds_load_b128 v[9:12], v106 offset:2048
	ds_load_b128 v[13:16], v106 offset:4096
	;; [unrolled: 1-line block ×5, first 2 shown]
	v_mul_u32_u24_e32 v210, 0xf00, v89
	v_fma_f64 v[177:178], v[179:180], v[45:46], v[132:133]
	v_fma_f64 v[179:180], v[181:182], v[45:46], -v[47:48]
	v_fma_f64 v[181:182], v[183:184], v[49:50], v[134:135]
	v_fma_f64 v[183:184], v[185:186], v[49:50], -v[51:52]
	;; [unrolled: 2-line block ×5, first 2 shown]
	ds_load_b128 v[1:4], v106 offset:12288
	ds_load_b128 v[29:32], v106 offset:16384
	;; [unrolled: 1-line block ×8, first 2 shown]
	s_wait_dscnt 0xd
	v_add_f64_e64 v[57:58], v[5:6], -v[75:76]
	v_add_f64_e64 v[59:60], v[7:8], -v[141:142]
	s_wait_dscnt 0xc
	v_add_f64_e64 v[132:133], v[9:10], -v[79:80]
	v_add_f64_e64 v[134:135], v[11:12], -v[143:144]
	;; [unrolled: 3-line block ×7, first 2 shown]
	v_add_f64_e64 v[163:164], v[151:152], -v[167:168]
	v_add_f64_e64 v[165:166], v[153:154], -v[169:170]
	s_wait_dscnt 0x6
	v_add_f64_e64 v[167:168], v[29:30], -v[171:172]
	v_add_f64_e64 v[169:170], v[31:32], -v[173:174]
	s_wait_dscnt 0x5
	v_add_f64_e64 v[171:172], v[33:34], -v[148:149]
	v_add_f64_e64 v[173:174], v[35:36], -v[175:176]
	v_add3_u32 v67, 0, v199, v94
	v_add3_u32 v68, 0, v200, v95
	;; [unrolled: 1-line block ×7, first 2 shown]
	s_wait_dscnt 0x4
	v_add_f64_e64 v[175:176], v[37:38], -v[177:178]
	v_add_f64_e64 v[177:178], v[39:40], -v[179:180]
	s_wait_dscnt 0x3
	v_add_f64_e64 v[179:180], v[41:42], -v[181:182]
	v_add_f64_e64 v[181:182], v[43:44], -v[183:184]
	s_wait_dscnt 0x2
	v_add_f64_e64 v[183:184], v[45:46], -v[185:186]
	v_add_f64_e64 v[185:186], v[47:48], -v[187:188]
	s_wait_dscnt 0x1
	v_add_f64_e64 v[187:188], v[49:50], -v[189:190]
	v_add_f64_e64 v[189:190], v[51:52], -v[193:194]
	s_wait_dscnt 0x0
	v_add_f64_e64 v[191:192], v[53:54], -v[195:196]
	v_add_f64_e64 v[193:194], v[55:56], -v[197:198]
	v_add3_u32 v80, 0, v206, v131
	v_fma_f64 v[5:6], v[5:6], 2.0, -v[57:58]
	v_fma_f64 v[7:8], v[7:8], 2.0, -v[59:60]
	v_fma_f64 v[9:10], v[9:10], 2.0, -v[132:133]
	v_fma_f64 v[11:12], v[11:12], 2.0, -v[134:135]
	v_fma_f64 v[13:14], v[13:14], 2.0, -v[136:137]
	v_fma_f64 v[15:16], v[15:16], 2.0, -v[138:139]
	v_fma_f64 v[17:18], v[17:18], 2.0, -v[140:141]
	v_fma_f64 v[19:20], v[19:20], 2.0, -v[142:143]
	v_fma_f64 v[21:22], v[21:22], 2.0, -v[144:145]
	v_fma_f64 v[23:24], v[23:24], 2.0, -v[146:147]
	v_fma_f64 v[25:26], v[25:26], 2.0, -v[155:156]
	v_fma_f64 v[27:28], v[27:28], 2.0, -v[157:158]
	v_fma_f64 v[1:2], v[1:2], 2.0, -v[159:160]
	v_fma_f64 v[3:4], v[3:4], 2.0, -v[161:162]
	v_fma_f64 v[94:95], v[151:152], 2.0, -v[163:164]
	v_fma_f64 v[96:97], v[153:154], 2.0, -v[165:166]
	v_fma_f64 v[29:30], v[29:30], 2.0, -v[167:168]
	v_fma_f64 v[31:32], v[31:32], 2.0, -v[169:170]
	v_fma_f64 v[33:34], v[33:34], 2.0, -v[171:172]
	v_fma_f64 v[35:36], v[35:36], 2.0, -v[173:174]
	v_add3_u32 v83, 0, v208, v99
	v_add3_u32 v84, 0, v209, v100
	;; [unrolled: 1-line block ×3, first 2 shown]
	global_wb scope:SCOPE_SE
	s_barrier_signal -1
	s_barrier_wait -1
	global_inv scope:SCOPE_SE
	v_fma_f64 v[37:38], v[37:38], 2.0, -v[175:176]
	v_fma_f64 v[39:40], v[39:40], 2.0, -v[177:178]
	;; [unrolled: 1-line block ×10, first 2 shown]
	ds_store_b128 v0, v[57:60] offset:960
	ds_store_b128 v0, v[5:8]
	ds_store_b128 v65, v[9:12]
	ds_store_b128 v65, v[132:135] offset:960
	ds_store_b128 v67, v[13:16]
	ds_store_b128 v67, v[136:139] offset:960
	;; [unrolled: 2-line block ×14, first 2 shown]
	global_wb scope:SCOPE_SE
	s_wait_dscnt 0x0
	s_barrier_signal -1
	s_barrier_wait -1
	global_inv scope:SCOPE_SE
	global_load_b128 v[1:4], v[61:62], off offset:1760
	v_and_b32_e32 v0, 0xffff, v124
	v_lshlrev_b32_e32 v99, 4, v225
	v_sub_nc_u16 v17, v125, v214
	v_sub_nc_u16 v18, v126, v215
	v_and_b32_e32 v23, 0xffff, v212
	v_lshlrev_b32_e32 v72, 4, v0
	global_load_b128 v[5:8], v99, s[4:5] offset:1760
	v_and_b32_e32 v0, 0xffff, v224
	v_sub_nc_u16 v19, v226, v216
	v_and_b32_e32 v17, 0xffff, v17
	global_load_b128 v[9:12], v72, s[4:5] offset:1760
	v_sub_nc_u16 v20, v110, v217
	v_lshlrev_b32_e32 v76, 4, v0
	v_and_b32_e32 v18, 0xffff, v18
	v_sub_nc_u16 v21, v111, v218
	v_lshlrev_b32_e32 v84, 4, v23
	v_and_b32_e32 v19, 0xffff, v19
	v_sub_nc_u16 v22, v113, v219
	v_lshlrev_b32_e32 v94, 4, v17
	global_load_b128 v[13:16], v76, s[4:5] offset:1760
	v_and_b32_e32 v20, 0xffff, v20
	v_sub_nc_u16 v0, v116, v220
	v_lshlrev_b32_e32 v95, 4, v18
	v_and_b32_e32 v21, 0xffff, v21
	global_load_b128 v[57:60], v84, s[4:5] offset:1760
	v_sub_nc_u16 v29, v114, v221
	v_lshlrev_b32_e32 v96, 4, v19
	v_and_b32_e32 v31, 0xffff, v22
	s_clause 0x1
	global_load_b128 v[53:56], v94, s[4:5] offset:1760
	global_load_b128 v[25:28], v95, s[4:5] offset:1760
	v_lshlrev_b32_e32 v97, 4, v20
	v_sub_nc_u16 v30, v115, v222
	v_and_b32_e32 v0, 0xffff, v0
	v_sub_nc_u16 v37, v117, v223
	v_lshlrev_b32_e32 v98, 4, v21
	s_clause 0x1
	global_load_b128 v[17:20], v96, s[4:5] offset:1760
	global_load_b128 v[21:24], v97, s[4:5] offset:1760
	v_and_b32_e32 v38, 0xffff, v29
	v_lshlrev_b32_e32 v75, 4, v31
	v_and_b32_e32 v39, 0xffff, v30
	v_lshlrev_b32_e32 v79, 4, v0
	global_load_b128 v[29:32], v98, s[4:5] offset:1760
	v_and_b32_e32 v0, 0xffff, v37
	v_lshlrev_b32_e32 v80, 4, v38
	s_clause 0x1
	global_load_b128 v[33:36], v75, s[4:5] offset:1760
	global_load_b128 v[41:44], v79, s[4:5] offset:1760
	v_lshlrev_b32_e32 v82, 4, v39
	v_lshlrev_b32_e32 v83, 4, v0
	s_clause 0x2
	global_load_b128 v[45:48], v80, s[4:5] offset:1760
	global_load_b128 v[49:52], v82, s[4:5] offset:1760
	;; [unrolled: 1-line block ×3, first 2 shown]
	v_mul_u32_u24_e32 v206, 0xf00, v85
	v_mul_u32_u24_e32 v208, 0xf00, v87
	;; [unrolled: 1-line block ×3, first 2 shown]
	ds_load_b128 v[85:88], v106 offset:30720
	s_wait_alu 0xf1ff
	v_cndmask_b32_e64 v100, 0, 0xf00, s0
	v_lshrrev_b32_e32 v102, 19, v121
	v_lshrrev_b32_e32 v103, 19, v122
	v_mul_u32_u24_e32 v211, 0xf00, v90
	v_mul_u32_u24_e32 v212, 0xf00, v91
	v_mul_u32_u24_e32 v214, 0xf00, v92
	ds_load_b128 v[89:92], v106 offset:32768
	v_lshrrev_b32_e32 v61, 17, v93
	v_add3_u32 v201, 0, v100, v101
	v_mul_lo_u16 v135, 0xf0, v102
	v_mul_lo_u16 v136, 0xf0, v103
	ds_load_b128 v[100:103], v106 offset:34816
	v_add_nc_u32_e32 v0, 0xffffff90, v105
	v_cmp_gt_u32_e64 s0, 0xf0, v213
	v_mul_u32_u24_e32 v204, 0xf00, v77
	v_mul_lo_u16 v77, 0xf0, v61
	v_lshrrev_b32_e32 v62, 18, v128
	v_lshrrev_b32_e32 v65, 18, v123
	s_wait_alu 0xf1ff
	v_cndmask_b32_e64 v73, v0, v213, s0
	v_lshrrev_b32_e32 v0, 18, v129
	v_mul_u32_u24_e32 v205, 0xf00, v78
	v_sub_nc_u16 v215, v109, v77
	v_lshrrev_b32_e32 v107, 19, v64
	v_mul_lo_u16 v108, 0xf0, v62
	v_mul_lo_u16 v0, 0xf0, v0
	v_mul_lo_u16 v124, 0xf0, v65
	v_lshrrev_b32_e32 v67, 19, v120
	v_mul_lo_u16 v159, 0xf0, v107
	v_lshrrev_b32_e32 v93, 18, v127
	v_sub_nc_u16 v0, v112, v0
	v_sub_nc_u16 v112, v125, v108
	ds_load_b128 v[127:130], v106 offset:36864
	ds_load_b128 v[131:134], v227
	v_lshrrev_b32_e32 v68, 19, v118
	v_sub_nc_u16 v216, v226, v124
	v_mul_lo_u16 v147, 0xf0, v67
	v_sub_nc_u16 v217, v117, v135
	v_sub_nc_u16 v218, v110, v136
	ds_load_b128 v[135:138], v106 offset:38912
	ds_load_b128 v[139:142], v106 offset:40960
	ds_load_b128 v[143:146], v106 offset:43008
	v_mul_lo_u16 v155, 0xf0, v68
	v_sub_nc_u16 v219, v111, v147
	ds_load_b128 v[147:150], v106 offset:45056
	ds_load_b128 v[151:154], v106 offset:47104
	v_lshrrev_b32_e32 v71, 19, v63
	v_sub_nc_u16 v220, v116, v155
	ds_load_b128 v[155:158], v106 offset:49152
	v_sub_nc_u16 v221, v114, v159
	ds_load_b128 v[159:162], v106 offset:51200
	v_mul_lo_u16 v163, 0xf0, v71
	v_mul_lo_u16 v93, 0xf0, v93
	v_add3_u32 v66, 0, v66, v99
	v_mul_u32_u24_e32 v203, 0xf00, v70
	v_mul_u32_u24_e32 v202, 0xf00, v69
	v_sub_nc_u16 v222, v115, v163
	ds_load_b128 v[163:166], v106 offset:53248
	ds_load_b128 v[167:170], v106 offset:55296
	;; [unrolled: 1-line block ×4, first 2 shown]
	v_sub_nc_u16 v93, v126, v93
	v_lshlrev_b64_e32 v[69:70], 4, v[73:74]
	v_lshrrev_b32_e32 v104, 19, v119
	v_and_b32_e32 v0, 0xffff, v0
	v_and_b32_e32 v112, 0xffff, v112
	v_lshrrev_b32_e32 v64, 20, v64
	v_lshrrev_b32_e32 v63, 20, v63
	v_add_co_u32 v69, s0, s4, v69
	s_wait_alu 0xf1ff
	v_add_co_ci_u32_e64 v70, s0, s5, v70, s0
	v_mul_lo_u16 v104, 0xf0, v104
	v_cmp_lt_u32_e64 s0, 0xef, v213
	v_mul_u32_u24_e32 v65, 0x1e00, v65
	v_mul_u32_u24_e32 v71, 0x1e00, v71
	s_delay_alu instid0(VALU_DEP_4)
	v_sub_nc_u16 v104, v113, v104
	s_wait_loadcnt_dscnt 0xe0f
	v_mul_f64_e32 v[77:78], v[87:88], v[3:4]
	v_mul_f64_e32 v[3:4], v[85:86], v[3:4]
	s_wait_loadcnt_dscnt 0xd0e
	v_mul_f64_e32 v[107:108], v[91:92], v[7:8]
	v_mul_f64_e32 v[7:8], v[89:90], v[7:8]
	s_wait_loadcnt_dscnt 0xc0d
	v_mul_f64_e32 v[124:125], v[102:103], v[11:12]
	v_mul_f64_e32 v[11:12], v[100:101], v[11:12]
	s_wait_loadcnt_dscnt 0xb0c
	v_mul_f64_e32 v[179:180], v[129:130], v[15:16]
	v_mul_f64_e32 v[15:16], v[127:128], v[15:16]
	s_wait_loadcnt_dscnt 0xa0a
	v_mul_f64_e32 v[181:182], v[137:138], v[59:60]
	v_mul_f64_e32 v[59:60], v[135:136], v[59:60]
	s_wait_loadcnt_dscnt 0x909
	v_mul_f64_e32 v[183:184], v[141:142], v[55:56]
	v_mul_f64_e32 v[55:56], v[139:140], v[55:56]
	s_wait_loadcnt_dscnt 0x808
	v_mul_f64_e32 v[185:186], v[145:146], v[27:28]
	v_mul_f64_e32 v[27:28], v[143:144], v[27:28]
	s_wait_loadcnt_dscnt 0x707
	v_mul_f64_e32 v[187:188], v[149:150], v[19:20]
	v_mul_f64_e32 v[19:20], v[147:148], v[19:20]
	s_wait_loadcnt_dscnt 0x606
	v_mul_f64_e32 v[189:190], v[153:154], v[23:24]
	v_fma_f64 v[77:78], v[85:86], v[1:2], v[77:78]
	v_mul_f64_e32 v[85:86], v[151:152], v[23:24]
	v_fma_f64 v[87:88], v[87:88], v[1:2], -v[3:4]
	s_wait_loadcnt_dscnt 0x505
	v_mul_f64_e32 v[191:192], v[157:158], v[31:32]
	v_mul_f64_e32 v[31:32], v[155:156], v[31:32]
	s_wait_loadcnt_dscnt 0x404
	v_mul_f64_e32 v[193:194], v[161:162], v[35:36]
	v_mul_f64_e32 v[35:36], v[159:160], v[35:36]
	v_fma_f64 v[89:90], v[89:90], v[5:6], v[107:108]
	s_wait_loadcnt_dscnt 0x303
	v_mul_f64_e32 v[107:108], v[165:166], v[43:44]
	v_mul_f64_e32 v[43:44], v[163:164], v[43:44]
	s_wait_loadcnt_dscnt 0x202
	v_mul_f64_e32 v[195:196], v[169:170], v[47:48]
	v_mul_f64_e32 v[47:48], v[167:168], v[47:48]
	v_fma_f64 v[100:101], v[100:101], v[9:10], v[124:125]
	s_wait_loadcnt_dscnt 0x101
	v_mul_f64_e32 v[124:125], v[173:174], v[51:52]
	v_mul_f64_e32 v[197:198], v[171:172], v[51:52]
	s_wait_loadcnt_dscnt 0x0
	v_mul_f64_e32 v[199:200], v[177:178], v[39:40]
	v_mul_f64_e32 v[39:40], v[175:176], v[39:40]
	v_fma_f64 v[91:92], v[91:92], v[5:6], -v[7:8]
	v_fma_f64 v[102:103], v[102:103], v[9:10], -v[11:12]
	v_fma_f64 v[126:127], v[127:128], v[13:14], v[179:180]
	v_fma_f64 v[128:129], v[129:130], v[13:14], -v[15:16]
	ds_load_b128 v[1:4], v106
	ds_load_b128 v[5:8], v106 offset:2048
	ds_load_b128 v[9:12], v106 offset:4096
	;; [unrolled: 1-line block ×3, first 2 shown]
	v_fma_f64 v[135:136], v[135:136], v[57:58], v[181:182]
	v_fma_f64 v[59:60], v[137:138], v[57:58], -v[59:60]
	v_and_b32_e32 v179, 0xffff, v93
	v_and_b32_e32 v130, 0xffff, v215
	v_fma_f64 v[139:140], v[139:140], v[53:54], v[183:184]
	v_fma_f64 v[141:142], v[141:142], v[53:54], -v[55:56]
	v_fma_f64 v[143:144], v[143:144], v[25:26], v[185:186]
	v_fma_f64 v[145:146], v[145:146], v[25:26], -v[27:28]
	ds_load_b128 v[23:26], v106 offset:8192
	ds_load_b128 v[51:54], v106 offset:10240
	v_and_b32_e32 v180, 0xffff, v216
	v_and_b32_e32 v215, 0xffff, v217
	v_fma_f64 v[147:148], v[147:148], v[17:18], v[187:188]
	v_fma_f64 v[149:150], v[149:150], v[17:18], -v[19:20]
	v_fma_f64 v[151:152], v[151:152], v[21:22], v[189:190]
	v_fma_f64 v[21:22], v[153:154], v[21:22], -v[85:86]
	;; [unrolled: 2-line block ×3, first 2 shown]
	s_wait_dscnt 0x5
	v_add_f64_e64 v[85:86], v[1:2], -v[77:78]
	v_fma_f64 v[159:160], v[159:160], v[33:34], v[193:194]
	v_fma_f64 v[161:162], v[161:162], v[33:34], -v[35:36]
	v_add_f64_e64 v[87:88], v[3:4], -v[87:88]
	v_fma_f64 v[107:108], v[163:164], v[41:42], v[107:108]
	v_fma_f64 v[165:166], v[165:166], v[41:42], -v[43:44]
	v_fma_f64 v[167:168], v[167:168], v[45:46], v[195:196]
	v_fma_f64 v[169:170], v[169:170], v[45:46], -v[47:48]
	s_wait_dscnt 0x4
	v_add_f64_e64 v[89:90], v[5:6], -v[89:90]
	v_fma_f64 v[171:172], v[171:172], v[49:50], v[124:125]
	v_fma_f64 v[173:174], v[173:174], v[49:50], -v[197:198]
	v_fma_f64 v[175:176], v[175:176], v[37:38], v[199:200]
	v_fma_f64 v[177:178], v[177:178], v[37:38], -v[39:40]
	ds_load_b128 v[17:20], v106 offset:12288
	ds_load_b128 v[27:30], v106 offset:16384
	;; [unrolled: 1-line block ×8, first 2 shown]
	v_add_f64_e64 v[91:92], v[7:8], -v[91:92]
	s_wait_dscnt 0xb
	v_add_f64_e64 v[99:100], v[9:10], -v[100:101]
	v_add_f64_e64 v[101:102], v[11:12], -v[102:103]
	s_wait_dscnt 0xa
	v_add_f64_e64 v[124:125], v[13:14], -v[126:127]
	;; [unrolled: 3-line block ×3, first 2 shown]
	v_add_f64_e64 v[137:138], v[25:26], -v[59:60]
	v_add3_u32 v60, 0, v203, v76
	v_add3_u32 v76, 0, v205, v94
	s_wait_dscnt 0x8
	v_add_f64_e64 v[139:140], v[51:52], -v[139:140]
	v_add_f64_e64 v[141:142], v[53:54], -v[141:142]
	v_add3_u32 v77, 0, v81, v95
	s_wait_dscnt 0x7
	v_add_f64_e64 v[143:144], v[17:18], -v[143:144]
	v_add_f64_e64 v[145:146], v[19:20], -v[145:146]
	v_add3_u32 v78, 0, v206, v96
	v_add3_u32 v59, 0, v202, v72
	v_add_f64_e64 v[147:148], v[131:132], -v[147:148]
	v_add_f64_e64 v[149:150], v[133:134], -v[149:150]
	s_wait_dscnt 0x6
	v_add_f64_e64 v[151:152], v[27:28], -v[151:152]
	v_add3_u32 v72, 0, v204, v84
	v_add_f64_e64 v[153:154], v[29:30], -v[21:22]
	v_add3_u32 v81, 0, v207, v97
	s_wait_dscnt 0x5
	v_add_f64_e64 v[155:156], v[31:32], -v[155:156]
	v_add_f64_e64 v[157:158], v[33:34], -v[157:158]
	v_fma_f64 v[1:2], v[1:2], 2.0, -v[85:86]
	s_wait_dscnt 0x4
	v_add_f64_e64 v[159:160], v[35:36], -v[159:160]
	v_add_f64_e64 v[161:162], v[37:38], -v[161:162]
	v_fma_f64 v[3:4], v[3:4], 2.0, -v[87:88]
	s_wait_dscnt 0x3
	v_add_f64_e64 v[163:164], v[39:40], -v[107:108]
	v_add_f64_e64 v[165:166], v[41:42], -v[165:166]
	s_wait_dscnt 0x2
	v_add_f64_e64 v[167:168], v[43:44], -v[167:168]
	v_add_f64_e64 v[169:170], v[45:46], -v[169:170]
	v_fma_f64 v[5:6], v[5:6], 2.0, -v[89:90]
	s_wait_dscnt 0x1
	v_add_f64_e64 v[171:172], v[47:48], -v[171:172]
	v_add_f64_e64 v[173:174], v[49:50], -v[173:174]
	s_wait_dscnt 0x0
	v_add_f64_e64 v[175:176], v[55:56], -v[175:176]
	v_add_f64_e64 v[177:178], v[57:58], -v[177:178]
	v_add3_u32 v84, 0, v208, v98
	v_fma_f64 v[7:8], v[7:8], 2.0, -v[91:92]
	v_fma_f64 v[9:10], v[9:10], 2.0, -v[99:100]
	;; [unrolled: 1-line block ×7, first 2 shown]
	global_wb scope:SCOPE_SE
	s_barrier_signal -1
	v_fma_f64 v[51:52], v[51:52], 2.0, -v[139:140]
	v_fma_f64 v[53:54], v[53:54], 2.0, -v[141:142]
	s_barrier_wait -1
	v_fma_f64 v[17:18], v[17:18], 2.0, -v[143:144]
	v_fma_f64 v[19:20], v[19:20], 2.0, -v[145:146]
	global_inv scope:SCOPE_SE
	v_mul_u32_u24_e32 v192, 0x1e00, v61
	v_fma_f64 v[93:94], v[131:132], 2.0, -v[147:148]
	v_fma_f64 v[95:96], v[133:134], 2.0, -v[149:150]
	;; [unrolled: 1-line block ×3, first 2 shown]
	v_mul_u32_u24_e32 v193, 0x1e00, v62
	v_fma_f64 v[27:28], v[29:30], 2.0, -v[153:154]
	v_mul_u32_u24_e32 v194, 0x1e00, v67
	v_fma_f64 v[29:30], v[31:32], 2.0, -v[155:156]
	v_fma_f64 v[31:32], v[33:34], 2.0, -v[157:158]
	v_mul_u32_u24_e32 v195, 0x1e00, v68
	v_fma_f64 v[33:34], v[35:36], 2.0, -v[159:160]
	v_fma_f64 v[35:36], v[37:38], 2.0, -v[161:162]
	;; [unrolled: 1-line block ×10, first 2 shown]
	v_add3_u32 v49, 0, v209, v75
	v_add3_u32 v50, 0, v210, v79
	;; [unrolled: 1-line block ×5, first 2 shown]
	ds_store_b128 v201, v[85:88] offset:1920
	ds_store_b128 v201, v[1:4]
	ds_store_b128 v66, v[5:8]
	ds_store_b128 v66, v[89:92] offset:1920
	ds_store_b128 v59, v[9:12]
	ds_store_b128 v59, v[99:102] offset:1920
	;; [unrolled: 2-line block ×14, first 2 shown]
	global_wb scope:SCOPE_SE
	s_wait_dscnt 0x0
	s_barrier_signal -1
	s_barrier_wait -1
	global_inv scope:SCOPE_SE
	scratch_load_b32 v205, off, off offset:8 th:TH_LOAD_LU ; 4-byte Folded Reload
	v_lshlrev_b32_e32 v78, 4, v130
	s_clause 0x1
	global_load_b128 v[5:8], v[69:70], off offset:3680
	global_load_b128 v[13:16], v231, s[4:5] offset:3936
	v_lshlrev_b32_e32 v79, 4, v0
	v_lshlrev_b32_e32 v80, 4, v112
	v_and_b32_e32 v1, 0xffff, v218
	global_load_b128 v[17:20], v78, s[4:5] offset:3680
	v_lshlrev_b32_e32 v81, 4, v179
	global_load_b128 v[21:24], v79, s[4:5] offset:3680
	v_and_b32_e32 v2, 0xffff, v219
	v_lshlrev_b32_e32 v82, 4, v180
	v_and_b32_e32 v3, 0xffff, v104
	s_clause 0x1
	global_load_b128 v[25:28], v80, s[4:5] offset:3680
	global_load_b128 v[29:32], v81, s[4:5] offset:3680
	v_lshlrev_b32_e32 v66, 4, v1
	v_and_b32_e32 v4, 0xffff, v220
	v_lshlrev_b32_e32 v83, 4, v2
	global_load_b128 v[33:36], v82, s[4:5] offset:3680
	v_lshlrev_b32_e32 v69, 4, v3
	v_and_b32_e32 v9, 0xffff, v221
	global_load_b128 v[37:40], v66, s[4:5] offset:3680
	v_and_b32_e32 v10, 0xffff, v222
	v_lshlrev_b32_e32 v84, 4, v4
	s_clause 0x1
	global_load_b128 v[45:48], v69, s[4:5] offset:3680
	global_load_b128 v[41:44], v83, s[4:5] offset:3680
	v_lshlrev_b32_e32 v70, 4, v9
	v_lshlrev_b32_e32 v72, 4, v10
	;; [unrolled: 1-line block ×3, first 2 shown]
	v_lshrrev_b32_e32 v86, 20, v122
	v_lshrrev_b32_e32 v87, 20, v121
	v_lshrrev_b32_e32 v88, 20, v120
	v_lshrrev_b32_e32 v89, 20, v119
	v_lshrrev_b32_e32 v76, 20, v118
	s_wait_alu 0xf1ff
	v_cndmask_b32_e64 v85, 0, 0x1e00, s0
	v_lshlrev_b32_e32 v90, 4, v73
	v_mul_lo_u16 v86, 0x1e0, v86
	v_mul_lo_u16 v87, 0x1e0, v87
	;; [unrolled: 1-line block ×7, first 2 shown]
	v_add3_u32 v196, 0, v85, v90
	v_sub_nc_u16 v97, v110, v86
	v_sub_nc_u16 v101, v117, v87
	;; [unrolled: 1-line block ×7, first 2 shown]
	v_and_b32_e32 v202, 0xffff, v97
	v_and_b32_e32 v203, 0xffff, v101
	v_lshrrev_b32_e32 v75, 19, v123
	v_add_nc_u32_e32 v0, 0xffffffa0, v105
	v_cmp_gt_u32_e64 s0, 0x1e0, v109
	v_and_b32_e32 v204, 0xffff, v146
	v_add3_u32 v65, 0, v65, v82
	v_mul_u32_u24_e32 v76, 0x3c00, v76
	global_load_b128 v[49:52], v84, s[4:5] offset:3680
	s_wait_alu 0xf1ff
	v_cndmask_b32_e64 v73, v0, v109, s0
	v_mul_lo_u16 v0, 0x1e0, v75
	v_mul_u32_u24_e32 v75, 0x3c00, v75
	s_delay_alu instid0(VALU_DEP_3) | instskip(NEXT) | instid1(VALU_DEP_3)
	v_lshlrev_b64_e32 v[67:68], 4, v[73:74]
	v_sub_nc_u16 v0, v226, v0
	s_delay_alu instid0(VALU_DEP_1)
	v_and_b32_e32 v201, 0xffff, v0
	s_wait_loadcnt 0xb
	s_clause 0x3
	global_load_b128 v[57:60], v205, s[4:5] offset:3680
	global_load_b128 v[53:56], v70, s[4:5] offset:3680
	global_load_b128 v[9:12], v72, s[4:5] offset:3680
	global_load_b128 v[1:4], v77, s[4:5] offset:3680
	ds_load_b128 v[61:64], v106 offset:30720
	ds_load_b128 v[85:88], v106 offset:32768
	;; [unrolled: 1-line block ×15, first 2 shown]
	ds_load_b128 v[146:149], v106
	ds_load_b128 v[150:153], v106 offset:2048
	s_wait_loadcnt_dscnt 0xe0f
	v_mul_f64_e32 v[154:155], v[87:88], v[7:8]
	v_mul_f64_e32 v[7:8], v[85:86], v[7:8]
	s_wait_loadcnt_dscnt 0xd0e
	v_mul_f64_e32 v[158:159], v[91:92], v[15:16]
	v_mul_f64_e32 v[15:16], v[89:90], v[15:16]
	;; [unrolled: 3-line block ×9, first 2 shown]
	s_wait_dscnt 0x6
	v_mul_f64_e32 v[174:175], v[128:129], v[47:48]
	v_mul_f64_e32 v[47:48], v[126:127], v[47:48]
	s_wait_loadcnt_dscnt 0x405
	v_mul_f64_e32 v[176:177], v[132:133], v[51:52]
	v_mul_f64_e32 v[51:52], v[130:131], v[51:52]
	v_fma_f64 v[188:189], v[85:86], v[5:6], v[154:155]
	v_fma_f64 v[190:191], v[87:88], v[5:6], -v[7:8]
	v_fma_f64 v[89:90], v[89:90], v[13:14], v[158:159]
	v_fma_f64 v[91:92], v[91:92], v[13:14], -v[15:16]
	;; [unrolled: 2-line block ×10, first 2 shown]
	v_add3_u32 v158, 0, v194, v83
	v_add3_u32 v159, 0, v195, v84
	v_fma_f64 v[130:131], v[130:131], v[49:50], v[176:177]
	v_fma_f64 v[132:133], v[132:133], v[49:50], -v[51:52]
	s_wait_dscnt 0x0
	v_add_f64_e64 v[43:44], v[150:151], -v[188:189]
	v_add_f64_e64 v[45:46], v[152:153], -v[190:191]
	s_wait_loadcnt 0x2
	v_mul_f64_e32 v[178:179], v[136:137], v[55:56]
	v_mul_f64_e32 v[107:108], v[63:64], v[59:60]
	;; [unrolled: 1-line block ×4, first 2 shown]
	s_wait_loadcnt 0x1
	v_mul_f64_e32 v[182:183], v[140:141], v[11:12]
	v_mul_f64_e32 v[11:12], v[138:139], v[11:12]
	s_wait_loadcnt 0x0
	v_mul_f64_e32 v[184:185], v[144:145], v[3:4]
	v_mul_f64_e32 v[186:187], v[142:143], v[3:4]
	v_fma_f64 v[134:135], v[134:135], v[53:54], v[178:179]
	v_fma_f64 v[107:108], v[61:62], v[57:58], v[107:108]
	v_fma_f64 v[63:64], v[63:64], v[57:58], -v[59:60]
	ds_load_b128 v[55:58], v106 offset:4096
	ds_load_b128 v[59:62], v106 offset:6144
	v_fma_f64 v[136:137], v[136:137], v[53:54], -v[180:181]
	v_fma_f64 v[138:139], v[138:139], v[9:10], v[182:183]
	v_fma_f64 v[140:141], v[140:141], v[9:10], -v[11:12]
	ds_load_b128 v[3:6], v106 offset:8192
	ds_load_b128 v[85:88], v106 offset:10240
	ds_load_b128 v[154:157], v227
	v_fma_f64 v[142:143], v[142:143], v[1:2], v[184:185]
	v_fma_f64 v[0:1], v[144:145], v[1:2], -v[186:187]
	ds_load_b128 v[7:10], v106 offset:12288
	ds_load_b128 v[11:14], v106 offset:16384
	;; [unrolled: 1-line block ×8, first 2 shown]
	global_wb scope:SCOPE_SE
	s_wait_dscnt 0x0
	s_barrier_signal -1
	s_barrier_wait -1
	global_inv scope:SCOPE_SE
	v_add_f64_e64 v[47:48], v[55:56], -v[89:90]
	v_add_f64_e64 v[49:50], v[57:58], -v[91:92]
	;; [unrolled: 1-line block ×28, first 2 shown]
	v_add3_u32 v63, 0, v192, v78
	v_add_nc_u32_e32 v64, 0, v79
	v_add3_u32 v107, 0, v193, v80
	v_add_nc_u32_e32 v108, 0, v81
	v_fma_f64 v[138:139], v[150:151], 2.0, -v[43:44]
	v_fma_f64 v[140:141], v[152:153], 2.0, -v[45:46]
	v_and_b32_e32 v0, 0xffff, v197
	v_fma_f64 v[55:56], v[55:56], 2.0, -v[47:48]
	v_fma_f64 v[57:58], v[57:58], 2.0, -v[49:50]
	;; [unrolled: 1-line block ×28, first 2 shown]
	v_add_nc_u32_e32 v37, 0, v66
	v_add_nc_u32_e32 v38, 0, v69
	v_add_nc_u32_e32 v66, 0, v70
	v_add3_u32 v69, 0, v71, v72
	v_add_nc_u32_e32 v70, 0, v77
	ds_store_b128 v106, v[39:42] offset:3840
	ds_store_b128 v106, v[78:81]
	ds_store_b128 v196, v[138:141]
	ds_store_b128 v196, v[43:46] offset:3840
	ds_store_b128 v106, v[55:58] offset:7936
	ds_store_b128 v106, v[47:50] offset:11776
	ds_store_b128 v63, v[59:62]
	ds_store_b128 v63, v[51:54] offset:3840
	ds_store_b128 v64, v[1:4] offset:15360
	ds_store_b128 v64, v[89:92] offset:19200
	;; [unrolled: 4-line block ×7, first 2 shown]
	v_and_b32_e32 v25, 0xffff, v198
	v_and_b32_e32 v29, 0xffff, v199
	;; [unrolled: 1-line block ×3, first 2 shown]
	v_add_co_u32 v13, s0, s4, v67
	s_wait_alu 0xf1ff
	v_add_co_ci_u32_e64 v14, s0, s5, v68, s0
	v_lshlrev_b32_e32 v83, 4, v201
	v_lshlrev_b32_e32 v82, 4, v202
	;; [unrolled: 1-line block ×8, first 2 shown]
	global_wb scope:SCOPE_SE
	s_wait_dscnt 0x0
	s_barrier_signal -1
	s_barrier_wait -1
	global_inv scope:SCOPE_SE
	s_clause 0xe
	global_load_b128 v[1:4], v205, s[4:5] offset:7520
	global_load_b128 v[33:36], v84, s[4:5] offset:7520
	;; [unrolled: 1-line block ×6, first 2 shown]
	global_load_b128 v[13:16], v[13:14], off offset:7520
	global_load_b128 v[53:56], v231, s[4:5] offset:12128
	global_load_b128 v[17:20], v83, s[4:5] offset:7520
	;; [unrolled: 1-line block ×8, first 2 shown]
	ds_load_b128 v[65:68], v106 offset:30720
	ds_load_b128 v[61:64], v106 offset:32768
	;; [unrolled: 1-line block ×5, first 2 shown]
	scratch_load_b64 v[93:94], off, off offset:16 th:TH_LOAD_LU ; 8-byte Folded Reload
	v_cmp_lt_u32_e64 s0, 0x1df, v109
	v_add3_u32 v75, 0, v75, v83
	v_add3_u32 v76, 0, v76, v84
	v_add_nc_u32_e32 v82, 0, v82
	v_add_nc_u32_e32 v77, 0, v77
	s_wait_alu 0xf1ff
	v_cndmask_b32_e64 v195, 0, 0x3c00, s0
	v_add_nc_u32_e32 v78, 0, v78
	v_add_nc_u32_e32 v79, 0, v79
	;; [unrolled: 1-line block ×4, first 2 shown]
	s_wait_loadcnt_dscnt 0xf04
	v_mul_f64_e32 v[107:108], v[67:68], v[3:4]
	v_mul_f64_e32 v[3:4], v[65:66], v[3:4]
	s_wait_loadcnt_dscnt 0xd03
	v_mul_f64_e32 v[166:167], v[63:64], v[7:8]
	v_mul_f64_e32 v[7:8], v[61:62], v[7:8]
	;; [unrolled: 3-line block ×4, first 2 shown]
	s_wait_dscnt 0x0
	v_mul_f64_e32 v[172:173], v[91:92], v[47:48]
	v_mul_f64_e32 v[47:48], v[89:90], v[47:48]
	s_wait_loadcnt 0x0
	v_subrev_nc_u32_e32 v194, 64, v93
	ds_load_b128 v[93:96], v106 offset:40960
	ds_load_b128 v[97:100], v106 offset:43008
	;; [unrolled: 1-line block ×10, first 2 shown]
	ds_load_b128 v[138:141], v106
	ds_load_b128 v[142:145], v106 offset:2048
	ds_load_b128 v[146:149], v106 offset:4096
	;; [unrolled: 1-line block ×5, first 2 shown]
	ds_load_b128 v[162:165], v227
	s_wait_dscnt 0x10
	v_mul_f64_e32 v[174:175], v[95:96], v[51:52]
	v_mul_f64_e32 v[51:52], v[93:94], v[51:52]
	s_wait_dscnt 0xf
	v_mul_f64_e32 v[176:177], v[99:100], v[55:56]
	v_mul_f64_e32 v[55:56], v[97:98], v[55:56]
	;; [unrolled: 3-line block ×10, first 2 shown]
	v_fma_f64 v[65:66], v[65:66], v[1:2], v[107:108]
	v_fma_f64 v[67:68], v[67:68], v[1:2], -v[3:4]
	v_fma_f64 v[61:62], v[61:62], v[5:6], v[166:167]
	v_fma_f64 v[63:64], v[63:64], v[5:6], -v[7:8]
	;; [unrolled: 2-line block ×15, first 2 shown]
	ds_load_b128 v[0:3], v106 offset:12288
	ds_load_b128 v[4:7], v106 offset:16384
	;; [unrolled: 1-line block ×8, first 2 shown]
	s_wait_dscnt 0xe
	v_add_f64_e64 v[32:33], v[138:139], -v[65:66]
	v_add_f64_e64 v[34:35], v[140:141], -v[67:68]
	s_wait_dscnt 0xd
	v_add_f64_e64 v[36:37], v[142:143], -v[61:62]
	v_add_f64_e64 v[38:39], v[144:145], -v[63:64]
	;; [unrolled: 3-line block ×5, first 2 shown]
	v_dual_mov_b32 v179, v243 :: v_dual_lshlrev_b32 v72, 4, v73
	global_wb scope:SCOPE_SE
	s_wait_dscnt 0x0
	s_barrier_signal -1
	s_barrier_wait -1
	v_cmp_gt_u32_e64 s0, 0x3c0, v179
	v_add3_u32 v72, 0, v195, v72
	v_add_f64_e64 v[52:53], v[158:159], -v[93:94]
	v_add_f64_e64 v[54:55], v[160:161], -v[95:96]
	;; [unrolled: 1-line block ×20, first 2 shown]
	s_wait_alu 0xf1ff
	v_cndmask_b32_e64 v73, v194, v179, s0
	v_fma_f64 v[109:110], v[138:139], 2.0, -v[32:33]
	v_fma_f64 v[111:112], v[140:141], 2.0, -v[34:35]
	;; [unrolled: 1-line block ×10, first 2 shown]
	global_inv scope:SCOPE_SE
	v_fma_f64 v[129:130], v[158:159], 2.0, -v[52:53]
	v_fma_f64 v[131:132], v[160:161], 2.0, -v[54:55]
	;; [unrolled: 1-line block ×20, first 2 shown]
	ds_store_b128 v106, v[36:39] offset:9728
	ds_store_b128 v106, v[40:43] offset:11776
	ds_store_b128 v106, v[109:112]
	ds_store_b128 v106, v[113:116] offset:2048
	ds_store_b128 v106, v[32:35] offset:7680
	ds_store_b128 v106, v[117:120] offset:4096
	ds_store_b128 v72, v[121:124]
	ds_store_b128 v72, v[44:47] offset:7680
	ds_store_b128 v106, v[125:128] offset:15872
	ds_store_b128 v106, v[129:132] offset:17920
	ds_store_b128 v106, v[48:51] offset:23552
	ds_store_b128 v106, v[0:3] offset:19968
	ds_store_b128 v106, v[52:55] offset:25600
	ds_store_b128 v106, v[56:59] offset:27648
	ds_store_b128 v75, v[133:136]
	ds_store_b128 v75, v[60:63] offset:7680
	ds_store_b128 v82, v[4:7] offset:30720
	ds_store_b128 v82, v[64:67] offset:38400
	ds_store_b128 v77, v[8:11] offset:30720
	ds_store_b128 v77, v[68:71] offset:38400
	ds_store_b128 v78, v[12:15] offset:30720
	ds_store_b128 v78, v[85:88] offset:38400
	ds_store_b128 v76, v[16:19]
	ds_store_b128 v76, v[89:92] offset:7680
	ds_store_b128 v79, v[20:23] offset:46080
	ds_store_b128 v79, v[93:96] offset:53760
	ds_store_b128 v80, v[24:27] offset:46080
	ds_store_b128 v80, v[97:100] offset:53760
	ds_store_b128 v81, v[28:31] offset:46080
	;; [unrolled: 1-line block ×3, first 2 shown]
	global_wb scope:SCOPE_SE
	s_wait_dscnt 0x0
	s_barrier_signal -1
	s_barrier_wait -1
	global_inv scope:SCOPE_SE
	global_load_b128 v[0:3], v205, s[4:5] offset:15200
	v_lshlrev_b64_e32 v[20:21], 4, v[73:74]
	s_clause 0x3
	global_load_b128 v[4:7], v231, s[4:5] offset:17248
	global_load_b128 v[8:11], v231, s[4:5] offset:19296
	;; [unrolled: 1-line block ×4, first 2 shown]
	v_lshlrev_b32_e32 v73, 4, v73
	v_add_co_u32 v28, s0, s4, v20
	s_wait_alu 0xf1ff
	v_add_co_ci_u32_e64 v29, s0, s5, v21, s0
	s_clause 0x9
	global_load_b128 v[20:23], v231, s[4:5] offset:25440
	global_load_b128 v[24:27], v231, s[4:5] offset:27488
	global_load_b128 v[28:31], v[28:29], off offset:15200
	global_load_b128 v[32:35], v231, s[4:5] offset:16224
	global_load_b128 v[36:39], v231, s[4:5] offset:18272
	;; [unrolled: 1-line block ×7, first 2 shown]
	ds_load_b128 v[60:63], v106 offset:30720
	ds_load_b128 v[64:67], v106 offset:32768
	;; [unrolled: 1-line block ×15, first 2 shown]
	ds_load_b128 v[129:132], v106
	ds_load_b128 v[133:136], v106 offset:2048
	ds_load_b128 v[137:140], v106 offset:4096
	;; [unrolled: 1-line block ×5, first 2 shown]
	v_cmp_lt_u32_e64 s0, 0x3bf, v179
	s_wait_alu 0xf1ff
	s_delay_alu instid0(VALU_DEP_1) | instskip(NEXT) | instid1(VALU_DEP_1)
	v_cndmask_b32_e64 v72, 0, 0x7800, s0
	v_add3_u32 v72, 0, v72, v73
	s_wait_loadcnt_dscnt 0xd13
	v_mul_f64_e32 v[107:108], v[66:67], v[6:7]
	v_mul_f64_e32 v[103:104], v[62:63], v[2:3]
	;; [unrolled: 1-line block ×4, first 2 shown]
	s_wait_loadcnt_dscnt 0xc12
	v_mul_f64_e32 v[153:154], v[70:71], v[10:11]
	v_mul_f64_e32 v[10:11], v[68:69], v[10:11]
	s_wait_loadcnt_dscnt 0xb11
	v_mul_f64_e32 v[155:156], v[77:78], v[14:15]
	v_mul_f64_e32 v[14:15], v[75:76], v[14:15]
	;; [unrolled: 3-line block ×11, first 2 shown]
	v_mul_f64_e32 v[165:166], v[97:98], v[34:35]
	s_wait_loadcnt_dscnt 0x6
	v_mul_f64_e32 v[177:178], v[127:128], v[58:59]
	v_mul_f64_e32 v[58:59], v[125:126], v[58:59]
	;; [unrolled: 1-line block ×3, first 2 shown]
	v_fma_f64 v[64:65], v[64:65], v[4:5], v[107:108]
	v_fma_f64 v[60:61], v[60:61], v[0:1], v[103:104]
	v_fma_f64 v[62:63], v[62:63], v[0:1], -v[2:3]
	v_fma_f64 v[66:67], v[66:67], v[4:5], -v[6:7]
	v_fma_f64 v[68:69], v[68:69], v[8:9], v[153:154]
	v_fma_f64 v[70:71], v[70:71], v[8:9], -v[10:11]
	v_fma_f64 v[75:76], v[75:76], v[12:13], v[155:156]
	;; [unrolled: 2-line block ×12, first 2 shown]
	v_fma_f64 v[121:122], v[125:126], v[56:57], v[177:178]
	v_fma_f64 v[123:124], v[127:128], v[56:57], -v[58:59]
	v_fma_f64 v[125:126], v[97:98], v[32:33], -v[34:35]
	ds_load_b128 v[0:3], v106 offset:12288
	ds_load_b128 v[4:7], v106 offset:16384
	ds_load_b128 v[8:11], v227
	ds_load_b128 v[12:15], v106 offset:18432
	ds_load_b128 v[16:19], v106 offset:20480
	ds_load_b128 v[20:23], v106 offset:22528
	ds_load_b128 v[24:27], v106 offset:24576
	ds_load_b128 v[28:31], v106 offset:26624
	ds_load_b128 v[32:35], v106 offset:28672
	global_wb scope:SCOPE_SE
	s_wait_dscnt 0x0
	s_barrier_signal -1
	s_barrier_wait -1
	global_inv scope:SCOPE_SE
	v_add_f64_e64 v[40:41], v[133:134], -v[64:65]
	v_add_f64_e64 v[36:37], v[129:130], -v[60:61]
	;; [unrolled: 1-line block ×30, first 2 shown]
	v_fma_f64 v[109:110], v[133:134], 2.0, -v[40:41]
	v_fma_f64 v[99:100], v[129:130], 2.0, -v[36:37]
	;; [unrolled: 1-line block ×30, first 2 shown]
	ds_store_b128 v106, v[40:43] offset:17408
	ds_store_b128 v106, v[44:47] offset:19456
	;; [unrolled: 1-line block ×6, first 2 shown]
	ds_store_b128 v106, v[99:102]
	ds_store_b128 v106, v[109:112] offset:2048
	ds_store_b128 v106, v[113:116] offset:4096
	;; [unrolled: 1-line block ×7, first 2 shown]
	ds_store_b128 v72, v[8:11]
	ds_store_b128 v72, v[64:67] offset:15360
	ds_store_b128 v106, v[68:71] offset:47104
	;; [unrolled: 1-line block ×15, first 2 shown]
	global_wb scope:SCOPE_SE
	s_wait_dscnt 0x0
	s_barrier_signal -1
	s_barrier_wait -1
	global_inv scope:SCOPE_SE
	s_clause 0x6
	global_load_b128 v[0:3], v205, s[4:5] offset:30560
	global_load_b128 v[4:7], v231, s[4:5] offset:32608
	global_load_b128 v[8:11], v231, s[4:5] offset:34656
	global_load_b128 v[12:15], v231, s[4:5] offset:36704
	global_load_b128 v[16:19], v231, s[4:5] offset:38752
	global_load_b128 v[20:23], v231, s[4:5] offset:40800
	global_load_b128 v[24:27], v231, s[4:5] offset:42848
	scratch_load_b32 v28, off, off offset:12 th:TH_LOAD_LU ; 4-byte Folded Reload
	s_wait_loadcnt 0x0
	s_clause 0x7
	global_load_b128 v[28:31], v28, s[4:5] offset:30560
	global_load_b128 v[32:35], v231, s[4:5] offset:48992
	;; [unrolled: 1-line block ×8, first 2 shown]
	ds_load_b128 v[60:63], v106 offset:30720
	ds_load_b128 v[64:67], v106 offset:32768
	;; [unrolled: 1-line block ×15, first 2 shown]
	ds_load_b128 v[129:132], v106
	ds_load_b128 v[133:136], v106 offset:2048
	ds_load_b128 v[137:140], v106 offset:4096
	;; [unrolled: 1-line block ×5, first 2 shown]
	s_wait_dscnt 0x14
	v_mul_f64_e32 v[72:73], v[62:63], v[2:3]
	v_mul_f64_e32 v[2:3], v[60:61], v[2:3]
	s_wait_dscnt 0x13
	v_mul_f64_e32 v[103:104], v[66:67], v[6:7]
	v_mul_f64_e32 v[6:7], v[64:65], v[6:7]
	s_wait_dscnt 0x12
	v_mul_f64_e32 v[107:108], v[70:71], v[10:11]
	v_mul_f64_e32 v[10:11], v[68:69], v[10:11]
	s_wait_dscnt 0x11
	v_mul_f64_e32 v[153:154], v[77:78], v[14:15]
	v_mul_f64_e32 v[14:15], v[75:76], v[14:15]
	s_wait_dscnt 0x10
	v_mul_f64_e32 v[155:156], v[81:82], v[18:19]
	v_mul_f64_e32 v[18:19], v[79:80], v[18:19]
	s_wait_dscnt 0xf
	v_mul_f64_e32 v[157:158], v[85:86], v[22:23]
	v_mul_f64_e32 v[22:23], v[83:84], v[22:23]
	s_wait_dscnt 0xe
	v_mul_f64_e32 v[159:160], v[89:90], v[26:27]
	v_mul_f64_e32 v[26:27], v[87:88], v[26:27]
	v_fma_f64 v[60:61], v[60:61], v[0:1], v[72:73]
	v_fma_f64 v[62:63], v[62:63], v[0:1], -v[2:3]
	v_fma_f64 v[64:65], v[64:65], v[4:5], v[103:104]
	v_fma_f64 v[66:67], v[66:67], v[4:5], -v[6:7]
	;; [unrolled: 2-line block ×7, first 2 shown]
	s_wait_loadcnt_dscnt 0x70d
	v_mul_f64_e32 v[161:162], v[93:94], v[30:31]
	v_mul_f64_e32 v[30:31], v[91:92], v[30:31]
	s_wait_loadcnt_dscnt 0x60b
	v_mul_f64_e32 v[163:164], v[101:102], v[34:35]
	v_mul_f64_e32 v[34:35], v[99:100], v[34:35]
	;; [unrolled: 3-line block ×7, first 2 shown]
	s_wait_loadcnt 0x0
	v_mul_f64_e32 v[175:176], v[97:98], v[58:59]
	v_mul_f64_e32 v[58:59], v[95:96], v[58:59]
	v_fma_f64 v[89:90], v[91:92], v[28:29], v[161:162]
	v_fma_f64 v[91:92], v[93:94], v[28:29], -v[30:31]
	v_fma_f64 v[93:94], v[99:100], v[32:33], v[163:164]
	v_fma_f64 v[99:100], v[101:102], v[32:33], -v[34:35]
	;; [unrolled: 2-line block ×8, first 2 shown]
	ds_load_b128 v[0:3], v106 offset:12288
	ds_load_b128 v[4:7], v106 offset:16384
	ds_load_b128 v[8:11], v227
	ds_load_b128 v[12:15], v106 offset:18432
	ds_load_b128 v[16:19], v106 offset:20480
	;; [unrolled: 1-line block ×6, first 2 shown]
	s_wait_dscnt 0xe
	v_add_f64_e64 v[36:37], v[129:130], -v[60:61]
	v_add_f64_e64 v[38:39], v[131:132], -v[62:63]
	s_wait_dscnt 0xd
	v_add_f64_e64 v[40:41], v[133:134], -v[64:65]
	v_add_f64_e64 v[42:43], v[135:136], -v[66:67]
	;; [unrolled: 3-line block ×7, first 2 shown]
	global_wb scope:SCOPE_SE
	s_wait_dscnt 0x0
	s_barrier_signal -1
	s_barrier_wait -1
	global_inv scope:SCOPE_SE
	v_add_f64_e64 v[64:65], v[8:9], -v[89:90]
	v_add_f64_e64 v[66:67], v[10:11], -v[91:92]
	;; [unrolled: 1-line block ×16, first 2 shown]
	v_fma_f64 v[99:100], v[129:130], 2.0, -v[36:37]
	v_fma_f64 v[101:102], v[131:132], 2.0, -v[38:39]
	;; [unrolled: 1-line block ×30, first 2 shown]
	ds_store_b128 v106, v[40:43] offset:32768
	ds_store_b128 v106, v[44:47] offset:34816
	;; [unrolled: 1-line block ×6, first 2 shown]
	ds_store_b128 v106, v[99:102]
	ds_store_b128 v106, v[109:112] offset:2048
	ds_store_b128 v106, v[113:116] offset:4096
	;; [unrolled: 1-line block ×7, first 2 shown]
	ds_store_b128 v227, v[8:11]
	ds_store_b128 v227, v[64:67] offset:30720
	ds_store_b128 v106, v[95:98] offset:47104
	;; [unrolled: 1-line block ×15, first 2 shown]
	global_wb scope:SCOPE_SE
	s_wait_dscnt 0x0
	s_barrier_signal -1
	s_barrier_wait -1
	global_inv scope:SCOPE_SE
	s_and_saveexec_b32 s0, vcc_lo
	s_cbranch_execz .LBB0_19
; %bb.18:
	scratch_load_b64 v[2:3], off, off th:TH_LOAD_LU ; 8-byte Folded Reload
	v_dual_mov_b32 v106, v74 :: v_dual_add_nc_u32 v73, 0x80, v105
	v_lshl_add_u32 v34, v105, 4, 0
	s_delay_alu instid0(VALU_DEP_2) | instskip(NEXT) | instid1(VALU_DEP_3)
	v_lshlrev_b64_e32 v[0:1], 4, v[105:106]
	v_lshlrev_b64_e32 v[16:17], 4, v[73:74]
	v_add_nc_u32_e32 v73, 0x100, v105
	s_delay_alu instid0(VALU_DEP_1) | instskip(SKIP_1) | instid1(VALU_DEP_1)
	v_lshlrev_b64_e32 v[20:21], 4, v[73:74]
	v_add_nc_u32_e32 v73, 0x180, v105
	v_lshlrev_b64_e32 v[22:23], 4, v[73:74]
	v_add_nc_u32_e32 v73, 0x200, v105
	s_delay_alu instid0(VALU_DEP_1)
	v_lshlrev_b64_e32 v[24:25], 4, v[73:74]
	v_add_nc_u32_e32 v73, 0x280, v105
	s_wait_loadcnt 0x0
	v_add_co_u32 v36, vcc_lo, s8, v2
	s_wait_alu 0xfffd
	v_add_co_ci_u32_e32 v37, vcc_lo, s9, v3, vcc_lo
	s_delay_alu instid0(VALU_DEP_2) | instskip(SKIP_1) | instid1(VALU_DEP_2)
	v_add_co_u32 v18, vcc_lo, v36, v0
	s_wait_alu 0xfffd
	v_add_co_ci_u32_e32 v19, vcc_lo, v37, v1, vcc_lo
	ds_load_b128 v[0:3], v34
	ds_load_b128 v[4:7], v34 offset:2048
	ds_load_b128 v[8:11], v34 offset:4096
	;; [unrolled: 1-line block ×3, first 2 shown]
	v_add_co_u32 v16, vcc_lo, v36, v16
	s_wait_alu 0xfffd
	v_add_co_ci_u32_e32 v17, vcc_lo, v37, v17, vcc_lo
	v_add_co_u32 v20, vcc_lo, v36, v20
	s_wait_alu 0xfffd
	v_add_co_ci_u32_e32 v21, vcc_lo, v37, v21, vcc_lo
	;; [unrolled: 3-line block ×3, first 2 shown]
	s_wait_dscnt 0x3
	global_store_b128 v[18:19], v[0:3], off
	s_wait_dscnt 0x2
	global_store_b128 v[16:17], v[4:7], off
	;; [unrolled: 2-line block ×4, first 2 shown]
	v_lshlrev_b64_e32 v[16:17], 4, v[73:74]
	v_add_nc_u32_e32 v73, 0x300, v105
	ds_load_b128 v[0:3], v34 offset:8192
	ds_load_b128 v[4:7], v34 offset:10240
	;; [unrolled: 1-line block ×4, first 2 shown]
	v_add_co_u32 v18, vcc_lo, v36, v24
	v_lshlrev_b64_e32 v[20:21], 4, v[73:74]
	v_add_nc_u32_e32 v73, 0x380, v105
	s_wait_alu 0xfffd
	v_add_co_ci_u32_e32 v19, vcc_lo, v37, v25, vcc_lo
	v_add_co_u32 v16, vcc_lo, v36, v16
	s_delay_alu instid0(VALU_DEP_3)
	v_lshlrev_b64_e32 v[22:23], 4, v[73:74]
	v_add_nc_u32_e32 v73, 0x400, v105
	s_wait_alu 0xfffd
	v_add_co_ci_u32_e32 v17, vcc_lo, v37, v17, vcc_lo
	v_add_co_u32 v20, vcc_lo, v36, v20
	s_wait_alu 0xfffd
	v_add_co_ci_u32_e32 v21, vcc_lo, v37, v21, vcc_lo
	v_add_co_u32 v22, vcc_lo, v36, v22
	v_lshlrev_b64_e32 v[24:25], 4, v[73:74]
	v_add_nc_u32_e32 v73, 0x480, v105
	s_wait_alu 0xfffd
	v_add_co_ci_u32_e32 v23, vcc_lo, v37, v23, vcc_lo
	s_wait_dscnt 0x3
	global_store_b128 v[18:19], v[0:3], off
	s_wait_dscnt 0x2
	global_store_b128 v[16:17], v[4:7], off
	s_wait_dscnt 0x1
	global_store_b128 v[20:21], v[8:11], off
	s_wait_dscnt 0x0
	global_store_b128 v[22:23], v[12:15], off
	ds_load_b128 v[0:3], v34 offset:16384
	ds_load_b128 v[4:7], v34 offset:18432
	v_lshlrev_b64_e32 v[16:17], 4, v[73:74]
	v_add_nc_u32_e32 v73, 0x500, v105
	ds_load_b128 v[8:11], v34 offset:20480
	ds_load_b128 v[12:15], v34 offset:22528
	v_add_co_u32 v18, vcc_lo, v36, v24
	s_wait_alu 0xfffd
	v_add_co_ci_u32_e32 v19, vcc_lo, v37, v25, vcc_lo
	v_lshlrev_b64_e32 v[20:21], 4, v[73:74]
	v_add_nc_u32_e32 v73, 0x580, v105
	v_add_co_u32 v16, vcc_lo, v36, v16
	s_wait_alu 0xfffd
	v_add_co_ci_u32_e32 v17, vcc_lo, v37, v17, vcc_lo
	s_delay_alu instid0(VALU_DEP_3) | instskip(SKIP_4) | instid1(VALU_DEP_4)
	v_lshlrev_b64_e32 v[22:23], 4, v[73:74]
	v_add_nc_u32_e32 v73, 0x600, v105
	v_add_co_u32 v20, vcc_lo, v36, v20
	s_wait_alu 0xfffd
	v_add_co_ci_u32_e32 v21, vcc_lo, v37, v21, vcc_lo
	v_add_co_u32 v22, vcc_lo, v36, v22
	v_lshlrev_b64_e32 v[24:25], 4, v[73:74]
	v_add_nc_u32_e32 v73, 0x680, v105
	s_wait_alu 0xfffd
	v_add_co_ci_u32_e32 v23, vcc_lo, v37, v23, vcc_lo
	s_wait_dscnt 0x3
	global_store_b128 v[18:19], v[0:3], off
	s_wait_dscnt 0x2
	global_store_b128 v[16:17], v[4:7], off
	s_wait_dscnt 0x1
	global_store_b128 v[20:21], v[8:11], off
	s_wait_dscnt 0x0
	global_store_b128 v[22:23], v[12:15], off
	ds_load_b128 v[0:3], v34 offset:24576
	ds_load_b128 v[4:7], v34 offset:26624
	v_lshlrev_b64_e32 v[16:17], 4, v[73:74]
	v_add_nc_u32_e32 v73, 0x700, v105
	ds_load_b128 v[8:11], v34 offset:28672
	ds_load_b128 v[12:15], v34 offset:30720
	v_add_co_u32 v18, vcc_lo, v36, v24
	s_wait_alu 0xfffd
	v_add_co_ci_u32_e32 v19, vcc_lo, v37, v25, vcc_lo
	v_lshlrev_b64_e32 v[20:21], 4, v[73:74]
	v_add_nc_u32_e32 v73, 0x780, v105
	v_add_co_u32 v16, vcc_lo, v36, v16
	s_wait_alu 0xfffd
	v_add_co_ci_u32_e32 v17, vcc_lo, v37, v17, vcc_lo
	s_delay_alu instid0(VALU_DEP_3) | instskip(SKIP_4) | instid1(VALU_DEP_4)
	v_lshlrev_b64_e32 v[22:23], 4, v[73:74]
	v_add_nc_u32_e32 v73, 0x800, v105
	;; [unrolled: 33-line block ×3, first 2 shown]
	v_add_co_u32 v20, vcc_lo, v36, v20
	s_wait_alu 0xfffd
	v_add_co_ci_u32_e32 v21, vcc_lo, v37, v21, vcc_lo
	v_add_co_u32 v22, vcc_lo, v36, v22
	v_lshlrev_b64_e32 v[24:25], 4, v[73:74]
	v_add_nc_u32_e32 v73, 0xa80, v105
	s_wait_alu 0xfffd
	v_add_co_ci_u32_e32 v23, vcc_lo, v37, v23, vcc_lo
	s_wait_dscnt 0x3
	global_store_b128 v[18:19], v[0:3], off
	s_wait_dscnt 0x2
	global_store_b128 v[16:17], v[4:7], off
	;; [unrolled: 2-line block ×4, first 2 shown]
	ds_load_b128 v[0:3], v34 offset:40960
	ds_load_b128 v[4:7], v34 offset:43008
	v_lshlrev_b64_e32 v[16:17], 4, v[73:74]
	v_add_nc_u32_e32 v73, 0xb00, v105
	ds_load_b128 v[8:11], v34 offset:45056
	ds_load_b128 v[12:15], v34 offset:47104
	v_add_co_u32 v18, vcc_lo, v36, v24
	s_wait_alu 0xfffd
	v_add_co_ci_u32_e32 v19, vcc_lo, v37, v25, vcc_lo
	v_lshlrev_b64_e32 v[20:21], 4, v[73:74]
	v_add_nc_u32_e32 v73, 0xb80, v105
	v_add_co_u32 v16, vcc_lo, v36, v16
	s_wait_alu 0xfffd
	v_add_co_ci_u32_e32 v17, vcc_lo, v37, v17, vcc_lo
	s_delay_alu instid0(VALU_DEP_3) | instskip(SKIP_4) | instid1(VALU_DEP_3)
	v_lshlrev_b64_e32 v[22:23], 4, v[73:74]
	v_add_nc_u32_e32 v73, 0xc00, v105
	v_add_co_u32 v20, vcc_lo, v36, v20
	s_wait_alu 0xfffd
	v_add_co_ci_u32_e32 v21, vcc_lo, v37, v21, vcc_lo
	v_lshlrev_b64_e32 v[24:25], 4, v[73:74]
	v_add_nc_u32_e32 v73, 0xc80, v105
	v_add_co_u32 v22, vcc_lo, v36, v22
	s_wait_alu 0xfffd
	v_add_co_ci_u32_e32 v23, vcc_lo, v37, v23, vcc_lo
	s_wait_dscnt 0x3
	global_store_b128 v[18:19], v[0:3], off
	s_wait_dscnt 0x2
	global_store_b128 v[16:17], v[4:7], off
	;; [unrolled: 2-line block ×4, first 2 shown]
	v_lshlrev_b64_e32 v[8:9], 4, v[73:74]
	v_add_nc_u32_e32 v73, 0xd00, v105
	v_add_co_u32 v24, vcc_lo, v36, v24
	s_wait_alu 0xfffd
	v_add_co_ci_u32_e32 v25, vcc_lo, v37, v25, vcc_lo
	s_delay_alu instid0(VALU_DEP_3) | instskip(SKIP_4) | instid1(VALU_DEP_4)
	v_lshlrev_b64_e32 v[10:11], 4, v[73:74]
	v_add_co_u32 v26, vcc_lo, v36, v8
	v_add_nc_u32_e32 v73, 0xd80, v105
	s_wait_alu 0xfffd
	v_add_co_ci_u32_e32 v27, vcc_lo, v37, v9, vcc_lo
	v_add_co_u32 v30, vcc_lo, v36, v10
	ds_load_b128 v[0:3], v34 offset:49152
	ds_load_b128 v[4:7], v34 offset:51200
	s_wait_alu 0xfffd
	v_add_co_ci_u32_e32 v31, vcc_lo, v37, v11, vcc_lo
	ds_load_b128 v[8:11], v34 offset:53248
	ds_load_b128 v[12:15], v34 offset:55296
	ds_load_b128 v[16:19], v34 offset:57344
	ds_load_b128 v[20:23], v34 offset:59392
	v_lshlrev_b64_e32 v[28:29], 4, v[73:74]
	v_add_nc_u32_e32 v73, 0xe00, v105
	s_delay_alu instid0(VALU_DEP_1) | instskip(SKIP_1) | instid1(VALU_DEP_4)
	v_lshlrev_b64_e32 v[32:33], 4, v[73:74]
	v_add_nc_u32_e32 v73, 0xe80, v105
	v_add_co_u32 v28, vcc_lo, v36, v28
	s_wait_alu 0xfffd
	v_add_co_ci_u32_e32 v29, vcc_lo, v37, v29, vcc_lo
	s_delay_alu instid0(VALU_DEP_3) | instskip(SKIP_3) | instid1(VALU_DEP_3)
	v_lshlrev_b64_e32 v[34:35], 4, v[73:74]
	v_add_co_u32 v32, vcc_lo, v36, v32
	s_wait_alu 0xfffd
	v_add_co_ci_u32_e32 v33, vcc_lo, v37, v33, vcc_lo
	v_add_co_u32 v34, vcc_lo, v36, v34
	s_wait_alu 0xfffd
	v_add_co_ci_u32_e32 v35, vcc_lo, v37, v35, vcc_lo
	s_wait_dscnt 0x5
	global_store_b128 v[24:25], v[0:3], off
	s_wait_dscnt 0x4
	global_store_b128 v[26:27], v[4:7], off
	;; [unrolled: 2-line block ×6, first 2 shown]
.LBB0_19:
	s_nop 0
	s_sendmsg sendmsg(MSG_DEALLOC_VGPRS)
	s_endpgm
	.section	.rodata,"a",@progbits
	.p2align	6, 0x0
	.amdhsa_kernel fft_rtc_back_len3840_factors_10_6_2_2_2_2_2_2_wgs_128_tpt_128_halfLds_dp_ip_CI_unitstride_sbrr_C2R_dirReg
		.amdhsa_group_segment_fixed_size 0
		.amdhsa_private_segment_fixed_size 36
		.amdhsa_kernarg_size 88
		.amdhsa_user_sgpr_count 2
		.amdhsa_user_sgpr_dispatch_ptr 0
		.amdhsa_user_sgpr_queue_ptr 0
		.amdhsa_user_sgpr_kernarg_segment_ptr 1
		.amdhsa_user_sgpr_dispatch_id 0
		.amdhsa_user_sgpr_private_segment_size 0
		.amdhsa_wavefront_size32 1
		.amdhsa_uses_dynamic_stack 0
		.amdhsa_enable_private_segment 1
		.amdhsa_system_sgpr_workgroup_id_x 1
		.amdhsa_system_sgpr_workgroup_id_y 0
		.amdhsa_system_sgpr_workgroup_id_z 0
		.amdhsa_system_sgpr_workgroup_info 0
		.amdhsa_system_vgpr_workitem_id 0
		.amdhsa_next_free_vgpr 256
		.amdhsa_next_free_sgpr 32
		.amdhsa_reserve_vcc 1
		.amdhsa_float_round_mode_32 0
		.amdhsa_float_round_mode_16_64 0
		.amdhsa_float_denorm_mode_32 3
		.amdhsa_float_denorm_mode_16_64 3
		.amdhsa_fp16_overflow 0
		.amdhsa_workgroup_processor_mode 1
		.amdhsa_memory_ordered 1
		.amdhsa_forward_progress 0
		.amdhsa_round_robin_scheduling 0
		.amdhsa_exception_fp_ieee_invalid_op 0
		.amdhsa_exception_fp_denorm_src 0
		.amdhsa_exception_fp_ieee_div_zero 0
		.amdhsa_exception_fp_ieee_overflow 0
		.amdhsa_exception_fp_ieee_underflow 0
		.amdhsa_exception_fp_ieee_inexact 0
		.amdhsa_exception_int_div_zero 0
	.end_amdhsa_kernel
	.text
.Lfunc_end0:
	.size	fft_rtc_back_len3840_factors_10_6_2_2_2_2_2_2_wgs_128_tpt_128_halfLds_dp_ip_CI_unitstride_sbrr_C2R_dirReg, .Lfunc_end0-fft_rtc_back_len3840_factors_10_6_2_2_2_2_2_2_wgs_128_tpt_128_halfLds_dp_ip_CI_unitstride_sbrr_C2R_dirReg
                                        ; -- End function
	.section	.AMDGPU.csdata,"",@progbits
; Kernel info:
; codeLenInByte = 26768
; NumSgprs: 34
; NumVgprs: 256
; ScratchSize: 36
; MemoryBound: 0
; FloatMode: 240
; IeeeMode: 1
; LDSByteSize: 0 bytes/workgroup (compile time only)
; SGPRBlocks: 4
; VGPRBlocks: 31
; NumSGPRsForWavesPerEU: 34
; NumVGPRsForWavesPerEU: 256
; Occupancy: 5
; WaveLimiterHint : 1
; COMPUTE_PGM_RSRC2:SCRATCH_EN: 1
; COMPUTE_PGM_RSRC2:USER_SGPR: 2
; COMPUTE_PGM_RSRC2:TRAP_HANDLER: 0
; COMPUTE_PGM_RSRC2:TGID_X_EN: 1
; COMPUTE_PGM_RSRC2:TGID_Y_EN: 0
; COMPUTE_PGM_RSRC2:TGID_Z_EN: 0
; COMPUTE_PGM_RSRC2:TIDIG_COMP_CNT: 0
	.text
	.p2alignl 7, 3214868480
	.fill 96, 4, 3214868480
	.type	__hip_cuid_bd22c34db45d6f38,@object ; @__hip_cuid_bd22c34db45d6f38
	.section	.bss,"aw",@nobits
	.globl	__hip_cuid_bd22c34db45d6f38
__hip_cuid_bd22c34db45d6f38:
	.byte	0                               ; 0x0
	.size	__hip_cuid_bd22c34db45d6f38, 1

	.ident	"AMD clang version 19.0.0git (https://github.com/RadeonOpenCompute/llvm-project roc-6.4.0 25133 c7fe45cf4b819c5991fe208aaa96edf142730f1d)"
	.section	".note.GNU-stack","",@progbits
	.addrsig
	.addrsig_sym __hip_cuid_bd22c34db45d6f38
	.amdgpu_metadata
---
amdhsa.kernels:
  - .args:
      - .actual_access:  read_only
        .address_space:  global
        .offset:         0
        .size:           8
        .value_kind:     global_buffer
      - .offset:         8
        .size:           8
        .value_kind:     by_value
      - .actual_access:  read_only
        .address_space:  global
        .offset:         16
        .size:           8
        .value_kind:     global_buffer
      - .actual_access:  read_only
        .address_space:  global
        .offset:         24
        .size:           8
        .value_kind:     global_buffer
      - .offset:         32
        .size:           8
        .value_kind:     by_value
      - .actual_access:  read_only
        .address_space:  global
        .offset:         40
        .size:           8
        .value_kind:     global_buffer
      - .actual_access:  read_only
        .address_space:  global
        .offset:         48
        .size:           8
        .value_kind:     global_buffer
      - .offset:         56
        .size:           4
        .value_kind:     by_value
      - .actual_access:  read_only
        .address_space:  global
        .offset:         64
        .size:           8
        .value_kind:     global_buffer
      - .actual_access:  read_only
        .address_space:  global
        .offset:         72
        .size:           8
        .value_kind:     global_buffer
      - .address_space:  global
        .offset:         80
        .size:           8
        .value_kind:     global_buffer
    .group_segment_fixed_size: 0
    .kernarg_segment_align: 8
    .kernarg_segment_size: 88
    .language:       OpenCL C
    .language_version:
      - 2
      - 0
    .max_flat_workgroup_size: 128
    .name:           fft_rtc_back_len3840_factors_10_6_2_2_2_2_2_2_wgs_128_tpt_128_halfLds_dp_ip_CI_unitstride_sbrr_C2R_dirReg
    .private_segment_fixed_size: 36
    .sgpr_count:     34
    .sgpr_spill_count: 0
    .symbol:         fft_rtc_back_len3840_factors_10_6_2_2_2_2_2_2_wgs_128_tpt_128_halfLds_dp_ip_CI_unitstride_sbrr_C2R_dirReg.kd
    .uniform_work_group_size: 1
    .uses_dynamic_stack: false
    .vgpr_count:     256
    .vgpr_spill_count: 8
    .wavefront_size: 32
    .workgroup_processor_mode: 1
amdhsa.target:   amdgcn-amd-amdhsa--gfx1201
amdhsa.version:
  - 1
  - 2
...

	.end_amdgpu_metadata
